;; amdgpu-corpus repo=ROCm/rocFFT kind=compiled arch=gfx950 opt=O3
	.text
	.amdgcn_target "amdgcn-amd-amdhsa--gfx950"
	.amdhsa_code_object_version 6
	.protected	fft_rtc_fwd_len1820_factors_10_13_7_2_wgs_182_tpt_182_halfLds_sp_ip_CI_unitstride_sbrr_C2R_dirReg ; -- Begin function fft_rtc_fwd_len1820_factors_10_13_7_2_wgs_182_tpt_182_halfLds_sp_ip_CI_unitstride_sbrr_C2R_dirReg
	.globl	fft_rtc_fwd_len1820_factors_10_13_7_2_wgs_182_tpt_182_halfLds_sp_ip_CI_unitstride_sbrr_C2R_dirReg
	.p2align	8
	.type	fft_rtc_fwd_len1820_factors_10_13_7_2_wgs_182_tpt_182_halfLds_sp_ip_CI_unitstride_sbrr_C2R_dirReg,@function
fft_rtc_fwd_len1820_factors_10_13_7_2_wgs_182_tpt_182_halfLds_sp_ip_CI_unitstride_sbrr_C2R_dirReg: ; @fft_rtc_fwd_len1820_factors_10_13_7_2_wgs_182_tpt_182_halfLds_sp_ip_CI_unitstride_sbrr_C2R_dirReg
; %bb.0:
	s_load_dwordx2 s[8:9], s[0:1], 0x50
	s_load_dwordx4 s[4:7], s[0:1], 0x0
	s_load_dwordx2 s[10:11], s[0:1], 0x18
	v_mul_u32_u24_e32 v1, 0x169, v0
	v_add_u32_sdwa v6, s2, v1 dst_sel:DWORD dst_unused:UNUSED_PAD src0_sel:DWORD src1_sel:WORD_1
	v_mov_b32_e32 v4, 0
	s_waitcnt lgkmcnt(0)
	v_cmp_lt_u64_e64 s[2:3], s[6:7], 2
	v_mov_b32_e32 v7, v4
	s_and_b64 vcc, exec, s[2:3]
	v_mov_b64_e32 v[2:3], 0
	s_cbranch_vccnz .LBB0_8
; %bb.1:
	s_load_dwordx2 s[2:3], s[0:1], 0x10
	s_add_u32 s12, s10, 8
	s_addc_u32 s13, s11, 0
	s_mov_b64 s[14:15], 1
	v_mov_b64_e32 v[2:3], 0
	s_waitcnt lgkmcnt(0)
	s_add_u32 s16, s2, 8
	s_addc_u32 s17, s3, 0
.LBB0_2:                                ; =>This Inner Loop Header: Depth=1
	s_load_dwordx2 s[18:19], s[16:17], 0x0
                                        ; implicit-def: $vgpr8_vgpr9
	s_waitcnt lgkmcnt(0)
	v_or_b32_e32 v5, s19, v7
	v_cmp_ne_u64_e32 vcc, 0, v[4:5]
	s_and_saveexec_b64 s[2:3], vcc
	s_xor_b64 s[20:21], exec, s[2:3]
	s_cbranch_execz .LBB0_4
; %bb.3:                                ;   in Loop: Header=BB0_2 Depth=1
	v_cvt_f32_u32_e32 v1, s18
	v_cvt_f32_u32_e32 v5, s19
	s_sub_u32 s2, 0, s18
	s_subb_u32 s3, 0, s19
	v_fmac_f32_e32 v1, 0x4f800000, v5
	v_rcp_f32_e32 v1, v1
	s_nop 0
	v_mul_f32_e32 v1, 0x5f7ffffc, v1
	v_mul_f32_e32 v5, 0x2f800000, v1
	v_trunc_f32_e32 v5, v5
	v_fmac_f32_e32 v1, 0xcf800000, v5
	v_cvt_u32_f32_e32 v5, v5
	v_cvt_u32_f32_e32 v1, v1
	v_mul_lo_u32 v8, s2, v5
	v_mul_hi_u32 v10, s2, v1
	v_mul_lo_u32 v9, s3, v1
	v_add_u32_e32 v10, v10, v8
	v_mul_lo_u32 v12, s2, v1
	v_add_u32_e32 v13, v10, v9
	v_mul_hi_u32 v8, v1, v12
	v_mul_hi_u32 v11, v1, v13
	v_mul_lo_u32 v10, v1, v13
	v_mov_b32_e32 v9, v4
	v_lshl_add_u64 v[8:9], v[8:9], 0, v[10:11]
	v_mul_hi_u32 v11, v5, v12
	v_mul_lo_u32 v12, v5, v12
	v_add_co_u32_e32 v8, vcc, v8, v12
	v_mul_hi_u32 v10, v5, v13
	s_nop 0
	v_addc_co_u32_e32 v8, vcc, v9, v11, vcc
	v_mov_b32_e32 v9, v4
	s_nop 0
	v_addc_co_u32_e32 v11, vcc, 0, v10, vcc
	v_mul_lo_u32 v10, v5, v13
	v_lshl_add_u64 v[8:9], v[8:9], 0, v[10:11]
	v_add_co_u32_e32 v1, vcc, v1, v8
	v_mul_lo_u32 v10, s2, v1
	s_nop 0
	v_addc_co_u32_e32 v5, vcc, v5, v9, vcc
	v_mul_lo_u32 v8, s2, v5
	v_mul_hi_u32 v9, s2, v1
	v_add_u32_e32 v8, v9, v8
	v_mul_lo_u32 v9, s3, v1
	v_add_u32_e32 v12, v8, v9
	v_mul_hi_u32 v14, v5, v10
	v_mul_lo_u32 v15, v5, v10
	v_mul_hi_u32 v9, v1, v12
	v_mul_lo_u32 v8, v1, v12
	v_mul_hi_u32 v10, v1, v10
	v_mov_b32_e32 v11, v4
	v_lshl_add_u64 v[8:9], v[10:11], 0, v[8:9]
	v_add_co_u32_e32 v8, vcc, v8, v15
	v_mul_hi_u32 v13, v5, v12
	s_nop 0
	v_addc_co_u32_e32 v8, vcc, v9, v14, vcc
	v_mul_lo_u32 v10, v5, v12
	s_nop 0
	v_addc_co_u32_e32 v11, vcc, 0, v13, vcc
	v_mov_b32_e32 v9, v4
	v_lshl_add_u64 v[8:9], v[8:9], 0, v[10:11]
	v_add_co_u32_e32 v1, vcc, v1, v8
	v_mul_hi_u32 v10, v6, v1
	s_nop 0
	v_addc_co_u32_e32 v5, vcc, v5, v9, vcc
	v_mad_u64_u32 v[8:9], s[2:3], v6, v5, 0
	v_mov_b32_e32 v11, v4
	v_lshl_add_u64 v[8:9], v[10:11], 0, v[8:9]
	v_mad_u64_u32 v[12:13], s[2:3], v7, v1, 0
	v_add_co_u32_e32 v1, vcc, v8, v12
	v_mad_u64_u32 v[10:11], s[2:3], v7, v5, 0
	s_nop 0
	v_addc_co_u32_e32 v8, vcc, v9, v13, vcc
	v_mov_b32_e32 v9, v4
	s_nop 0
	v_addc_co_u32_e32 v11, vcc, 0, v11, vcc
	v_lshl_add_u64 v[8:9], v[8:9], 0, v[10:11]
	v_mul_lo_u32 v1, s19, v8
	v_mul_lo_u32 v5, s18, v9
	v_mad_u64_u32 v[10:11], s[2:3], s18, v8, 0
	v_add3_u32 v1, v11, v5, v1
	v_sub_u32_e32 v5, v7, v1
	v_mov_b32_e32 v11, s19
	v_sub_co_u32_e32 v14, vcc, v6, v10
	v_lshl_add_u64 v[12:13], v[8:9], 0, 1
	s_nop 0
	v_subb_co_u32_e64 v5, s[2:3], v5, v11, vcc
	v_subrev_co_u32_e64 v10, s[2:3], s18, v14
	v_subb_co_u32_e32 v1, vcc, v7, v1, vcc
	s_nop 0
	v_subbrev_co_u32_e64 v5, s[2:3], 0, v5, s[2:3]
	v_cmp_le_u32_e64 s[2:3], s19, v5
	v_cmp_le_u32_e32 vcc, s19, v1
	s_nop 0
	v_cndmask_b32_e64 v11, 0, -1, s[2:3]
	v_cmp_le_u32_e64 s[2:3], s18, v10
	s_nop 1
	v_cndmask_b32_e64 v10, 0, -1, s[2:3]
	v_cmp_eq_u32_e64 s[2:3], s19, v5
	s_nop 1
	v_cndmask_b32_e64 v5, v11, v10, s[2:3]
	v_lshl_add_u64 v[10:11], v[8:9], 0, 2
	v_cmp_ne_u32_e64 s[2:3], 0, v5
	s_nop 1
	v_cndmask_b32_e64 v5, v13, v11, s[2:3]
	v_cndmask_b32_e64 v11, 0, -1, vcc
	v_cmp_le_u32_e32 vcc, s18, v14
	s_nop 1
	v_cndmask_b32_e64 v13, 0, -1, vcc
	v_cmp_eq_u32_e32 vcc, s19, v1
	s_nop 1
	v_cndmask_b32_e32 v1, v11, v13, vcc
	v_cmp_ne_u32_e32 vcc, 0, v1
	v_cndmask_b32_e64 v1, v12, v10, s[2:3]
	s_nop 0
	v_cndmask_b32_e32 v9, v9, v5, vcc
	v_cndmask_b32_e32 v8, v8, v1, vcc
.LBB0_4:                                ;   in Loop: Header=BB0_2 Depth=1
	s_andn2_saveexec_b64 s[2:3], s[20:21]
	s_cbranch_execz .LBB0_6
; %bb.5:                                ;   in Loop: Header=BB0_2 Depth=1
	v_cvt_f32_u32_e32 v1, s18
	s_sub_i32 s20, 0, s18
	v_rcp_iflag_f32_e32 v1, v1
	s_nop 0
	v_mul_f32_e32 v1, 0x4f7ffffe, v1
	v_cvt_u32_f32_e32 v1, v1
	v_mul_lo_u32 v5, s20, v1
	v_mul_hi_u32 v5, v1, v5
	v_add_u32_e32 v1, v1, v5
	v_mul_hi_u32 v1, v6, v1
	v_mul_lo_u32 v5, v1, s18
	v_sub_u32_e32 v5, v6, v5
	v_add_u32_e32 v8, 1, v1
	v_subrev_u32_e32 v9, s18, v5
	v_cmp_le_u32_e32 vcc, s18, v5
	s_nop 1
	v_cndmask_b32_e32 v5, v5, v9, vcc
	v_cndmask_b32_e32 v1, v1, v8, vcc
	v_add_u32_e32 v8, 1, v1
	v_cmp_le_u32_e32 vcc, s18, v5
	v_mov_b32_e32 v9, v4
	s_nop 0
	v_cndmask_b32_e32 v8, v1, v8, vcc
.LBB0_6:                                ;   in Loop: Header=BB0_2 Depth=1
	s_or_b64 exec, exec, s[2:3]
	v_mad_u64_u32 v[10:11], s[2:3], v8, s18, 0
	s_load_dwordx2 s[2:3], s[12:13], 0x0
	v_mul_lo_u32 v1, v9, s18
	v_mul_lo_u32 v5, v8, s19
	v_add3_u32 v1, v11, v5, v1
	v_sub_co_u32_e32 v5, vcc, v6, v10
	s_add_u32 s14, s14, 1
	s_nop 0
	v_subb_co_u32_e32 v1, vcc, v7, v1, vcc
	s_addc_u32 s15, s15, 0
	s_waitcnt lgkmcnt(0)
	v_mul_lo_u32 v1, s2, v1
	v_mul_lo_u32 v6, s3, v5
	v_mad_u64_u32 v[2:3], s[2:3], s2, v5, v[2:3]
	s_add_u32 s12, s12, 8
	v_add3_u32 v3, v6, v3, v1
	s_addc_u32 s13, s13, 0
	v_mov_b64_e32 v[6:7], s[6:7]
	s_add_u32 s16, s16, 8
	v_cmp_ge_u64_e32 vcc, s[14:15], v[6:7]
	s_addc_u32 s17, s17, 0
	s_cbranch_vccnz .LBB0_9
; %bb.7:                                ;   in Loop: Header=BB0_2 Depth=1
	v_mov_b64_e32 v[6:7], v[8:9]
	s_branch .LBB0_2
.LBB0_8:
	v_mov_b64_e32 v[8:9], v[6:7]
.LBB0_9:
	s_lshl_b64 s[2:3], s[6:7], 3
	s_add_u32 s2, s10, s2
	s_addc_u32 s3, s11, s3
	s_load_dwordx2 s[6:7], s[2:3], 0x0
	s_load_dwordx2 s[10:11], s[0:1], 0x20
	s_mov_b32 s2, 0x1681682
	v_mov_b32_e32 v29, 0
	s_waitcnt lgkmcnt(0)
	v_mul_lo_u32 v1, s6, v9
	v_mul_lo_u32 v4, s7, v8
	v_mad_u64_u32 v[2:3], s[0:1], s6, v8, v[2:3]
	v_add3_u32 v3, v4, v3, v1
	v_mul_hi_u32 v1, v0, s2
	v_mul_u32_u24_e32 v1, 0xb6, v1
	v_sub_u32_e32 v28, v0, v1
	v_cmp_gt_u64_e64 s[0:1], s[10:11], v[8:9]
	v_lshl_add_u64 v[24:25], v[2:3], 3, s[8:9]
	v_mov_b32_e32 v26, v28
	s_and_saveexec_b64 s[2:3], s[0:1]
	s_cbranch_execz .LBB0_13
; %bb.10:
	v_lshl_add_u64 v[0:1], v[28:29], 3, v[24:25]
	v_add_co_u32_e32 v2, vcc, 0x1000, v0
	s_movk_i32 s6, 0xb5
	s_nop 0
	v_addc_co_u32_e32 v3, vcc, 0, v1, vcc
	v_add_co_u32_e32 v12, vcc, 0x2000, v0
	global_load_dwordx2 v[4:5], v[0:1], off
	global_load_dwordx2 v[6:7], v[0:1], off offset:1456
	global_load_dwordx2 v[8:9], v[0:1], off offset:2912
	;; [unrolled: 1-line block ×3, first 2 shown]
	v_addc_co_u32_e32 v13, vcc, 0, v1, vcc
	v_add_co_u32_e32 v0, vcc, 0x3000, v0
	global_load_dwordx2 v[14:15], v[2:3], off offset:1728
	global_load_dwordx2 v[16:17], v[2:3], off offset:3184
	;; [unrolled: 1-line block ×4, first 2 shown]
	v_addc_co_u32_e32 v1, vcc, 0, v1, vcc
	global_load_dwordx2 v[2:3], v[12:13], off offset:3456
	global_load_dwordx2 v[22:23], v[0:1], off offset:816
	v_lshl_add_u32 v0, v28, 3, 0
	v_add_u32_e32 v1, 0xa00, v0
	v_add_u32_e32 v12, 0x1600, v0
	;; [unrolled: 1-line block ×4, first 2 shown]
	v_cmp_eq_u32_e32 vcc, s6, v28
	s_waitcnt vmcnt(8)
	ds_write2_b64 v0, v[4:5], v[6:7] offset1:182
	s_waitcnt vmcnt(6)
	ds_write2_b64 v1, v[8:9], v[10:11] offset0:44 offset1:226
	s_waitcnt vmcnt(4)
	ds_write2_b64 v12, v[14:15], v[16:17] offset0:24 offset1:206
	;; [unrolled: 2-line block ×4, first 2 shown]
	v_mov_b64_e32 v[0:1], v[28:29]
	s_and_saveexec_b64 s[6:7], vcc
	s_cbranch_execz .LBB0_12
; %bb.11:
	v_add_co_u32_e32 v0, vcc, 0x3000, v24
	v_mov_b32_e32 v2, 0
	s_nop 0
	v_addc_co_u32_e32 v1, vcc, 0, v25, vcc
	global_load_dwordx2 v[0:1], v[0:1], off offset:2272
	v_mov_b32_e32 v28, 0xb5
	s_waitcnt vmcnt(0)
	ds_write_b64 v2, v[0:1] offset:14560
	v_mov_b64_e32 v[0:1], 0xb5
.LBB0_12:
	s_or_b64 exec, exec, s[6:7]
	v_mov_b32_e32 v26, v28
	v_mov_b64_e32 v[28:29], v[0:1]
.LBB0_13:
	s_or_b64 exec, exec, s[2:3]
	v_lshlrev_b32_e32 v0, 3, v26
	v_add_u32_e32 v190, 0, v0
	s_waitcnt lgkmcnt(0)
	s_barrier
	v_sub_u32_e32 v2, 0, v0
	ds_read_b32 v1, v190
	ds_read_b32 v3, v2 offset:14560
	s_add_u32 s2, s4, 0x3890
	s_addc_u32 s3, s5, 0
	v_cmp_ne_u32_e32 vcc, 0, v26
	s_waitcnt lgkmcnt(0)
	v_add_f32_e32 v0, v3, v1
	v_sub_f32_e32 v1, v1, v3
	s_and_saveexec_b64 s[6:7], vcc
	s_xor_b64 s[6:7], exec, s[6:7]
	s_cbranch_execz .LBB0_15
; %bb.14:
	v_lshl_add_u64 v[4:5], v[28:29], 3, s[2:3]
	global_load_dwordx2 v[4:5], v[4:5], off
	ds_read_b32 v3, v2 offset:14564
	ds_read_b32 v9, v190 offset:4
	v_mov_b32_e32 v6, v1
	v_mov_b32_e32 v8, v0
	;; [unrolled: 1-line block ×3, first 2 shown]
	s_waitcnt lgkmcnt(0)
	v_add_f32_e32 v7, v3, v9
	v_sub_f32_e32 v9, v9, v3
	v_mov_b32_e32 v10, v7
	s_waitcnt vmcnt(0)
	v_pk_mul_f32 v[12:13], v[6:7], v[4:5] op_sel:[0,1]
	v_pk_fma_f32 v[6:7], v[6:7], v[4:5], v[8:9] op_sel:[0,1,0]
	v_mov_b32_e32 v1, v13
	v_mov_b32_e32 v13, v9
	v_pk_fma_f32 v[14:15], v[4:5], v[10:11], v[6:7] neg_lo:[1,0,0] neg_hi:[1,0,0]
	v_pk_fma_f32 v[6:7], v[4:5], v[10:11], v[6:7] op_sel_hi:[0,1,1]
	v_pk_add_f32 v[0:1], v[0:1], v[12:13] neg_lo:[0,1] neg_hi:[0,1]
	v_mov_b32_e32 v15, v7
	v_pk_fma_f32 v[0:1], v[4:5], v[10:11], v[0:1] op_sel_hi:[0,1,1]
	ds_write_b64 v2, v[0:1] offset:14560
	v_mov_b64_e32 v[0:1], v[14:15]
.LBB0_15:
	s_andn2_saveexec_b64 s[6:7], s[6:7]
	s_cbranch_execz .LBB0_17
; %bb.16:
	v_mov_b32_e32 v3, 0
	ds_read_b64 v[4:5], v3 offset:7280
	s_mov_b32 s8, 2.0
	s_mov_b32 s9, -2.0
	s_waitcnt lgkmcnt(0)
	v_pk_mul_f32 v[4:5], v[4:5], s[8:9]
	ds_write_b64 v3, v[4:5] offset:7280
.LBB0_17:
	s_or_b64 exec, exec, s[6:7]
	v_mov_b32_e32 v27, 0
	v_lshl_add_u64 v[4:5], v[26:27], 3, s[2:3]
	global_load_dwordx2 v[6:7], v[4:5], off offset:1456
	global_load_dwordx2 v[8:9], v[4:5], off offset:2912
	s_movk_i32 s2, 0x1000
	v_add_co_u32_e32 v4, vcc, s2, v4
	v_add_u32_e32 v3, 0xa00, v190
	s_nop 0
	v_addc_co_u32_e32 v5, vcc, 0, v5, vcc
	global_load_dwordx2 v[10:11], v[4:5], off offset:272
	global_load_dwordx2 v[12:13], v[4:5], off offset:1728
	ds_write_b64 v190, v[0:1]
	ds_read_b64 v[0:1], v2 offset:13104
	ds_read_b64 v[4:5], v190 offset:1456
	v_add_u32_e32 v31, 0x2000, v190
	s_mov_b32 s2, 0x3f737871
	s_mov_b32 s3, 0xbf737871
	;; [unrolled: 1-line block ×3, first 2 shown]
	s_waitcnt lgkmcnt(0)
	v_pk_add_f32 v[14:15], v[4:5], v[0:1]
	v_pk_add_f32 v[0:1], v[4:5], v[0:1] neg_lo:[0,1] neg_hi:[0,1]
	v_mov_b32_e32 v4, v15
	v_mov_b32_e32 v5, v0
	;; [unrolled: 1-line block ×3, first 2 shown]
	s_mov_b32 s9, 0xbf167918
	s_mov_b32 s6, 0x3e9e377a
	;; [unrolled: 1-line block ×3, first 2 shown]
	s_waitcnt vmcnt(3)
	v_pk_mul_f32 v[16:17], v[4:5], v[6:7] op_sel:[0,1]
	s_nop 0
	v_pk_add_f32 v[18:19], v[14:15], v[16:17] op_sel:[0,1] op_sel_hi:[1,0]
	v_mov_b32_e32 v15, v16
	v_mov_b32_e32 v0, v17
	v_pk_fma_f32 v[16:17], v[6:7], v[4:5], v[18:19] neg_lo:[1,0,0] neg_hi:[1,0,0]
	v_pk_fma_f32 v[18:19], v[6:7], v[4:5], v[18:19] op_sel_hi:[0,1,1]
	v_pk_add_f32 v[0:1], v[14:15], v[0:1] neg_lo:[0,1] neg_hi:[0,1]
	v_mov_b32_e32 v17, v19
	v_pk_fma_f32 v[0:1], v[6:7], v[4:5], v[0:1] op_sel_hi:[0,1,1]
	ds_write_b64 v190, v[16:17] offset:1456
	ds_write_b64 v2, v[0:1] offset:13104
	ds_read_b64 v[0:1], v2 offset:11648
	ds_read_b64 v[4:5], v190 offset:2912
	s_waitcnt lgkmcnt(0)
	v_pk_add_f32 v[6:7], v[4:5], v[0:1]
	v_pk_add_f32 v[0:1], v[4:5], v[0:1] neg_lo:[0,1] neg_hi:[0,1]
	v_mov_b32_e32 v4, v7
	v_mov_b32_e32 v5, v0
	;; [unrolled: 1-line block ×3, first 2 shown]
	s_waitcnt vmcnt(2)
	v_pk_mul_f32 v[14:15], v[4:5], v[8:9] op_sel:[0,1]
	s_nop 0
	v_pk_add_f32 v[16:17], v[6:7], v[14:15] op_sel:[0,1] op_sel_hi:[1,0]
	v_mov_b32_e32 v7, v14
	v_mov_b32_e32 v0, v15
	v_pk_fma_f32 v[14:15], v[8:9], v[4:5], v[16:17] neg_lo:[1,0,0] neg_hi:[1,0,0]
	v_pk_fma_f32 v[16:17], v[8:9], v[4:5], v[16:17] op_sel_hi:[0,1,1]
	v_pk_add_f32 v[0:1], v[6:7], v[0:1] neg_lo:[0,1] neg_hi:[0,1]
	v_mov_b32_e32 v15, v17
	v_pk_fma_f32 v[0:1], v[8:9], v[4:5], v[0:1] op_sel_hi:[0,1,1]
	ds_write_b64 v190, v[14:15] offset:2912
	ds_write_b64 v2, v[0:1] offset:11648
	ds_read_b64 v[0:1], v2 offset:10192
	ds_read_b64 v[4:5], v190 offset:4368
	v_add_u32_e32 v16, 0x1600, v190
	s_waitcnt lgkmcnt(0)
	v_pk_add_f32 v[6:7], v[4:5], v[0:1]
	v_pk_add_f32 v[0:1], v[4:5], v[0:1] neg_lo:[0,1] neg_hi:[0,1]
	v_mov_b32_e32 v4, v7
	v_mov_b32_e32 v5, v0
	v_mov_b32_e32 v7, v1
	s_waitcnt vmcnt(1)
	v_pk_mul_f32 v[8:9], v[4:5], v[10:11] op_sel:[0,1]
	s_nop 0
	v_pk_add_f32 v[14:15], v[6:7], v[8:9] op_sel:[0,1] op_sel_hi:[1,0]
	v_mov_b32_e32 v7, v8
	v_mov_b32_e32 v0, v9
	v_pk_fma_f32 v[8:9], v[10:11], v[4:5], v[14:15] neg_lo:[1,0,0] neg_hi:[1,0,0]
	v_pk_fma_f32 v[14:15], v[10:11], v[4:5], v[14:15] op_sel_hi:[0,1,1]
	v_pk_add_f32 v[0:1], v[6:7], v[0:1] neg_lo:[0,1] neg_hi:[0,1]
	v_mov_b32_e32 v9, v15
	v_pk_fma_f32 v[0:1], v[10:11], v[4:5], v[0:1] op_sel_hi:[0,1,1]
	ds_write_b64 v190, v[8:9] offset:4368
	ds_write_b64 v2, v[0:1] offset:10192
	ds_read_b64 v[0:1], v2 offset:8736
	ds_read_b64 v[4:5], v190 offset:5824
	v_add_u32_e32 v14, 0x2c00, v190
	s_waitcnt lgkmcnt(0)
	v_pk_add_f32 v[6:7], v[4:5], v[0:1]
	v_pk_add_f32 v[0:1], v[4:5], v[0:1] neg_lo:[0,1] neg_hi:[0,1]
	v_mov_b32_e32 v4, v7
	v_mov_b32_e32 v5, v0
	;; [unrolled: 1-line block ×3, first 2 shown]
	s_waitcnt vmcnt(0)
	v_pk_mul_f32 v[8:9], v[4:5], v[12:13] op_sel:[0,1]
	s_nop 0
	v_pk_add_f32 v[10:11], v[6:7], v[8:9] op_sel:[0,1] op_sel_hi:[1,0]
	v_mov_b32_e32 v7, v8
	v_mov_b32_e32 v0, v9
	v_pk_fma_f32 v[8:9], v[12:13], v[4:5], v[10:11] neg_lo:[1,0,0] neg_hi:[1,0,0]
	v_pk_fma_f32 v[10:11], v[12:13], v[4:5], v[10:11] op_sel_hi:[0,1,1]
	v_pk_add_f32 v[0:1], v[6:7], v[0:1] neg_lo:[0,1] neg_hi:[0,1]
	v_mov_b32_e32 v9, v11
	v_pk_fma_f32 v[0:1], v[12:13], v[4:5], v[0:1] op_sel_hi:[0,1,1]
	ds_write_b64 v190, v[8:9] offset:5824
	ds_write_b64 v2, v[0:1] offset:8736
	s_waitcnt lgkmcnt(0)
	s_barrier
	s_barrier
	ds_read2_b64 v[2:5], v3 offset0:44 offset1:226
	ds_read2_b64 v[6:9], v16 offset0:24 offset1:206
	;; [unrolled: 1-line block ×4, first 2 shown]
	ds_read2_b64 v[18:21], v190 offset1:182
	s_waitcnt lgkmcnt(0)
	v_pk_add_f32 v[34:35], v[6:7], v[2:3] neg_lo:[0,1] neg_hi:[0,1]
	v_pk_add_f32 v[32:33], v[6:7], v[10:11] neg_lo:[0,1] neg_hi:[0,1]
	v_pk_add_f32 v[0:1], v[2:3], v[14:15]
	v_pk_add_f32 v[22:23], v[2:3], v[14:15] neg_lo:[0,1] neg_hi:[0,1]
	v_pk_add_f32 v[36:37], v[10:11], v[14:15] neg_lo:[0,1] neg_hi:[0,1]
	v_pk_add_f32 v[38:39], v[18:19], v[2:3]
	v_pk_add_f32 v[44:45], v[4:5], v[16:17] op_sel:[1,1] op_sel_hi:[0,0]
	v_pk_add_f32 v[46:47], v[8:9], v[4:5] op_sel:[1,1] op_sel_hi:[0,0] neg_lo:[0,1] neg_hi:[0,1]
	v_pk_add_f32 v[48:49], v[12:13], v[16:17] op_sel:[1,1] op_sel_hi:[0,0] neg_lo:[0,1] neg_hi:[0,1]
	v_pk_fma_f32 v[0:1], v[0:1], 0.5, v[18:19] op_sel_hi:[1,0,1] neg_lo:[1,0,0] neg_hi:[1,0,0]
	v_pk_mul_f32 v[50:51], v[32:33], s[2:3] op_sel_hi:[1,0]
	v_pk_add_f32 v[42:43], v[8:9], v[12:13] neg_lo:[0,1] neg_hi:[0,1]
	v_pk_mul_f32 v[52:53], v[22:23], s[8:9] op_sel_hi:[1,0]
	v_pk_add_f32 v[34:35], v[34:35], v[36:37]
	v_pk_add_f32 v[36:37], v[38:39], v[6:7]
	v_pk_fma_f32 v[38:39], v[44:45], 0.5, v[20:21] op_sel:[0,0,1] op_sel_hi:[1,0,0] neg_lo:[1,0,0] neg_hi:[1,0,0]
	v_pk_add_f32 v[44:45], v[46:47], v[48:49]
	v_pk_add_f32 v[46:47], v[0:1], v[50:51] op_sel:[0,1] op_sel_hi:[1,0] neg_lo:[0,1] neg_hi:[0,1]
	v_pk_add_f32 v[0:1], v[0:1], v[50:51] op_sel:[0,1] op_sel_hi:[1,0]
	v_pk_add_f32 v[40:41], v[4:5], v[16:17] neg_lo:[0,1] neg_hi:[0,1]
	v_pk_fma_f32 v[48:49], v[42:43], s[2:3], v[38:39] op_sel_hi:[1,0,1]
	v_pk_fma_f32 v[38:39], v[42:43], s[2:3], v[38:39] op_sel_hi:[1,0,1] neg_lo:[1,0,0] neg_hi:[1,0,0]
	v_pk_add_f32 v[46:47], v[46:47], v[52:53] op_sel:[0,1] op_sel_hi:[1,0]
	v_pk_add_f32 v[50:51], v[0:1], v[52:53] op_sel:[0,1] op_sel_hi:[1,0] neg_lo:[0,1] neg_hi:[0,1]
	v_pk_fma_f32 v[48:49], v[40:41], s[8:9], v[48:49] op_sel_hi:[1,0,1] neg_lo:[1,0,0] neg_hi:[1,0,0]
	v_mov_b32_e32 v0, v50
	v_mov_b32_e32 v1, v47
	v_pk_fma_f32 v[38:39], v[40:41], s[8:9], v[38:39] op_sel_hi:[1,0,1]
	v_pk_fma_f32 v[52:53], v[34:35], s[6:7], v[0:1] op_sel_hi:[1,0,1]
	v_mov_b32_e32 v0, v38
	v_mov_b32_e32 v1, v49
	v_pk_fma_f32 v[0:1], v[44:45], s[6:7], v[0:1] op_sel_hi:[1,0,1]
	v_pk_add_f32 v[36:37], v[36:37], v[10:11]
	v_pk_mul_f32 v[54:55], v[0:1], s[6:7] op_sel_hi:[1,0]
	v_pk_add_f32 v[36:37], v[36:37], v[14:15]
	v_pk_fma_f32 v[54:55], v[0:1], s[2:3], v[54:55] op_sel:[0,0,1] op_sel_hi:[1,1,0] neg_lo:[0,0,1] neg_hi:[0,0,1]
	v_pk_add_f32 v[0:1], v[20:21], v[4:5]
	v_pk_add_f32 v[2:3], v[2:3], v[6:7] neg_lo:[0,1] neg_hi:[0,1]
	v_pk_add_f32 v[0:1], v[0:1], v[8:9]
	v_pk_add_f32 v[14:15], v[14:15], v[10:11] neg_lo:[0,1] neg_hi:[0,1]
	v_pk_add_f32 v[6:7], v[6:7], v[10:11]
	v_pk_add_f32 v[0:1], v[0:1], v[12:13]
	;; [unrolled: 1-line block ×3, first 2 shown]
	v_pk_add_f32 v[10:11], v[4:5], v[8:9] op_sel:[1,1] op_sel_hi:[0,0] neg_lo:[0,1] neg_hi:[0,1]
	v_pk_add_f32 v[8:9], v[8:9], v[12:13] op_sel:[1,1] op_sel_hi:[0,0]
	v_pk_fma_f32 v[6:7], v[6:7], 0.5, v[18:19] op_sel_hi:[1,0,1] neg_lo:[1,0,0] neg_hi:[1,0,0]
	v_pk_mul_f32 v[14:15], v[22:23], s[2:3] op_sel_hi:[1,0]
	v_pk_add_f32 v[56:57], v[0:1], v[16:17]
	v_pk_mul_f32 v[18:19], v[32:33], s[8:9] op_sel_hi:[1,0]
	v_pk_add_f32 v[12:13], v[16:17], v[12:13] op_sel:[1,1] op_sel_hi:[0,0] neg_lo:[0,1] neg_hi:[0,1]
	v_pk_add_f32 v[16:17], v[6:7], v[14:15] op_sel:[0,1] op_sel_hi:[1,0] neg_lo:[0,1] neg_hi:[0,1]
	v_pk_fma_f32 v[8:9], v[8:9], 0.5, v[20:21] op_sel:[0,0,1] op_sel_hi:[1,0,0] neg_lo:[1,0,0] neg_hi:[1,0,0]
	v_pk_add_f32 v[16:17], v[16:17], v[18:19] op_sel:[0,1] op_sel_hi:[1,0] neg_lo:[0,1] neg_hi:[0,1]
	v_pk_fma_f32 v[20:21], v[40:41], s[2:3], v[8:9] op_sel_hi:[1,0,1]
	v_pk_add_f32 v[10:11], v[10:11], v[12:13]
	v_pk_fma_f32 v[8:9], v[40:41], s[2:3], v[8:9] op_sel_hi:[1,0,1] neg_lo:[1,0,0] neg_hi:[1,0,0]
	v_pk_fma_f32 v[22:23], v[2:3], s[6:7], v[16:17] op_sel_hi:[1,0,1]
	v_pk_add_f32 v[32:33], v[6:7], v[14:15] op_sel:[0,1] op_sel_hi:[1,0]
	v_pk_mul_f32 v[12:13], v[10:11], s[6:7] op_sel_hi:[1,0]
	v_pk_fma_f32 v[8:9], v[42:43], s[8:9], v[8:9] op_sel_hi:[1,0,1] neg_lo:[1,0,0] neg_hi:[1,0,0]
	v_pk_fma_f32 v[20:21], v[42:43], s[8:9], v[20:21] op_sel_hi:[1,0,1]
	v_pk_add_f32 v[32:33], v[32:33], v[18:19] op_sel:[0,1] op_sel_hi:[1,0]
	v_add_f32_e32 v22, v12, v8
	v_mov_b32_e32 v8, v20
	v_mov_b32_e32 v7, v13
	;; [unrolled: 1-line block ×5, first 2 shown]
	v_pk_add_f32 v[6:7], v[6:7], v[20:21]
	v_mov_b32_e32 v15, 0x3f4f1bbd
	v_pk_fma_f32 v[16:17], v[2:3], s[6:7], v[16:17] op_sel_hi:[1,0,1]
	v_pk_mul_f32 v[2:3], v[2:3], s[6:7] op_sel_hi:[1,0]
	v_pk_fma_f32 v[8:9], v[10:11], s[6:7], v[8:9] op_sel_hi:[1,0,1]
	v_pk_add_f32 v[10:11], v[18:19], v[6:7] op_sel:[1,0] op_sel_hi:[0,1]
	v_pk_mul_f32 v[12:13], v[14:15], v[6:7]
	v_mul_f32_e32 v3, 0x3f167918, v22
	v_mov_b32_e32 v11, v13
	v_pk_add_f32 v[2:3], v[2:3], v[10:11]
	v_pk_mul_f32 v[10:11], v[8:9], s[10:11] op_sel_hi:[1,0]
	s_movk_i32 s7, 0x48
	v_mov_b32_e32 v49, v39
	v_pk_fma_f32 v[12:13], v[8:9], s[8:9], v[10:11] op_sel:[0,0,1] op_sel_hi:[1,1,0] neg_lo:[0,0,1] neg_hi:[0,0,1]
	v_pk_fma_f32 v[8:9], v[44:45], s[6:7], v[48:49] op_sel_hi:[1,0,1]
	v_mul_f32_e32 v19, 0xbf167918, v7
	v_pk_mul_f32 v[10:11], v[8:9], s[2:3] op_sel_hi:[1,0]
	v_mov_b32_e32 v47, v51
	v_pk_fma_f32 v[14:15], v[8:9], s[6:7], v[10:11] op_sel:[0,0,1] op_sel_hi:[1,0,0]
	v_pk_fma_f32 v[8:9], v[8:9], s[6:7], v[10:11] op_sel:[0,0,1] op_sel_hi:[1,0,0] neg_lo:[0,0,1] neg_hi:[0,0,1]
	v_fmac_f32_e32 v19, 0x3f4f1bbd, v22
	v_mov_b32_e32 v22, v2
	v_mov_b32_e32 v18, v3
	v_pk_fma_f32 v[20:21], v[34:35], s[6:7], v[46:47] op_sel_hi:[1,0,1]
	v_mov_b32_e32 v32, v15
	v_mov_b32_e32 v33, v8
	s_movk_i32 s2, 0x8c
	v_pk_add_f32 v[0:1], v[36:37], v[56:57]
	v_pk_add_f32 v[4:5], v[52:53], v[54:55] neg_lo:[0,1] neg_hi:[0,1]
	v_pk_add_f32 v[6:7], v[16:17], v[12:13] neg_lo:[0,1] neg_hi:[0,1]
	v_mad_u32_u24 v30, v26, s7, v190
	v_pk_add_f32 v[2:3], v[22:23], v[18:19]
	v_pk_add_f32 v[8:9], v[20:21], v[32:33]
	;; [unrolled: 1-line block ×4, first 2 shown]
	v_pk_add_f32 v[14:15], v[36:37], v[56:57] neg_lo:[0,1] neg_hi:[0,1]
	v_pk_add_f32 v[16:17], v[22:23], v[18:19] neg_lo:[0,1] neg_hi:[0,1]
	;; [unrolled: 1-line block ×3, first 2 shown]
	v_cmp_gt_u32_e32 vcc, s2, v26
	s_barrier
	ds_write2_b64 v30, v[0:1], v[2:3] offset1:1
	ds_write2_b64 v30, v[8:9], v[10:11] offset0:2 offset1:3
	ds_write2_b64 v30, v[12:13], v[14:15] offset0:4 offset1:5
	;; [unrolled: 1-line block ×4, first 2 shown]
	s_waitcnt lgkmcnt(0)
	s_barrier
	s_waitcnt lgkmcnt(0)
                                        ; implicit-def: $vgpr22
                                        ; implicit-def: $vgpr30
                                        ; implicit-def: $vgpr32
                                        ; implicit-def: $vgpr34
                                        ; implicit-def: $vgpr40
	s_and_saveexec_b64 s[2:3], vcc
	s_cbranch_execz .LBB0_19
; %bb.18:
	v_add_u32_e32 v4, 0x800, v190
	ds_read2_b64 v[8:11], v4 offset0:24 offset1:164
	v_add_u32_e32 v4, 0x1000, v190
	ds_read2_b64 v[0:3], v190 offset1:140
	ds_read2_b64 v[12:15], v4 offset0:48 offset1:188
	v_add_u32_e32 v4, 0x1800, v190
	v_add_u32_e32 v5, 0x2a00, v190
	ds_read2_b64 v[20:23], v5 offset0:56 offset1:196
	ds_read_b64 v[32:33], v190 offset:13440
	ds_read2_b64 v[16:19], v4 offset0:72 offset1:212
	ds_read2_b64 v[4:7], v31 offset0:96 offset1:236
	s_waitcnt lgkmcnt(3)
	v_mov_b32_e32 v30, v23
	s_waitcnt lgkmcnt(2)
	v_mov_b32_e32 v34, v33
	v_mov_b32_e32 v40, v21
.LBB0_19:
	s_or_b64 exec, exec, s[2:3]
	s_movk_i32 s2, 0xcd
	v_mul_lo_u16_sdwa v21, v26, s2 dst_sel:DWORD dst_unused:UNUSED_PAD src0_sel:BYTE_0 src1_sel:DWORD
	v_lshrrev_b16_e32 v191, 11, v21
	v_mul_lo_u16_e32 v21, 10, v191
	v_sub_u16_e32 v192, v26, v21
	v_mov_b32_e32 v21, 12
	v_mul_u32_u24_sdwa v21, v192, v21 dst_sel:DWORD dst_unused:UNUSED_PAD src0_sel:BYTE_0 src1_sel:DWORD
	v_lshlrev_b32_e32 v21, 3, v21
	global_load_dwordx4 v[36:39], v21, s[4:5]
	global_load_dwordx4 v[42:45], v21, s[4:5] offset:80
	global_load_dwordx4 v[46:49], v21, s[4:5] offset:16
	;; [unrolled: 1-line block ×5, first 2 shown]
	v_mov_b32_e32 v58, v11
	v_mov_b32_e32 v60, v13
	;; [unrolled: 1-line block ×3, first 2 shown]
	s_waitcnt lgkmcnt(1)
	v_mov_b32_e32 v68, v17
	v_mov_b32_e32 v70, v19
	s_mov_b32 s14, 0xbe750f2a
	s_mov_b32 s2, 0xbf788fa5
	;; [unrolled: 1-line block ×14, first 2 shown]
	s_waitcnt lgkmcnt(0)
	s_barrier
	s_waitcnt vmcnt(5)
	v_mul_f32_e32 v35, v2, v37
	v_mul_f32_e32 v11, v3, v37
	;; [unrolled: 1-line block ×3, first 2 shown]
	s_waitcnt vmcnt(4)
	v_pk_mul_f32 v[74:75], v[34:35], v[44:45] op_sel_hi:[0,1]
	v_mul_f32_e32 v13, v9, v39
	v_pk_mul_f32 v[72:73], v[30:31], v[42:43] op_sel_hi:[0,1]
	s_waitcnt vmcnt(0)
	v_mov_b32_e32 v80, v65
	v_mov_b32_e32 v81, v64
	v_fma_f32 v34, v2, v36, -v11
	v_fmac_f32_e32 v35, v3, v36
	v_pk_fma_f32 v[36:37], v[32:33], v[44:45], v[74:75] op_sel:[0,0,1] op_sel_hi:[1,1,0] neg_lo:[0,0,1] neg_hi:[0,0,1]
	v_pk_fma_f32 v[2:3], v[32:33], v[44:45], v[74:75] op_sel:[0,0,1] op_sel_hi:[0,1,0]
	v_pk_mul_f32 v[58:59], v[58:59], v[46:47] op_sel:[0,1] op_sel_hi:[0,0]
	v_pk_mul_f32 v[60:61], v[60:61], v[48:49] op_sel_hi:[0,1]
	v_pk_mul_f32 v[66:67], v[66:67], v[50:51] op_sel_hi:[0,1]
	;; [unrolled: 1-line block ×4, first 2 shown]
	v_pk_mul_f32 v[76:77], v[4:5], v[56:57] op_sel:[1,0]
	v_pk_mul_f32 v[78:79], v[6:7], v[62:63] op_sel:[1,0]
	v_fma_f32 v30, v8, v38, -v13
	v_fmac_f32_e32 v31, v9, v38
	v_pk_fma_f32 v[38:39], v[22:23], v[42:43], v[72:73] op_sel:[0,0,1] op_sel_hi:[1,1,0] neg_lo:[0,0,1] neg_hi:[0,0,1]
	v_pk_fma_f32 v[8:9], v[22:23], v[42:43], v[72:73] op_sel:[0,0,1] op_sel_hi:[0,1,0]
	v_pk_mul_f32 v[22:23], v[40:41], v[80:81] op_sel_hi:[0,1]
	v_mov_b32_e32 v37, v3
	v_pk_fma_f32 v[44:45], v[10:11], v[46:47], v[58:59] neg_lo:[0,0,1] neg_hi:[0,0,1]
	v_pk_fma_f32 v[10:11], v[10:11], v[46:47], v[58:59] op_sel_hi:[0,1,1]
	v_pk_fma_f32 v[46:47], v[12:13], v[48:49], v[60:61] op_sel:[0,0,1] op_sel_hi:[1,1,0] neg_lo:[0,0,1] neg_hi:[0,0,1]
	v_pk_fma_f32 v[12:13], v[12:13], v[48:49], v[60:61] op_sel:[0,0,1] op_sel_hi:[0,1,0]
	v_pk_fma_f32 v[48:49], v[14:15], v[50:51], v[66:67] op_sel:[0,0,1] op_sel_hi:[1,1,0] neg_lo:[0,0,1] neg_hi:[0,0,1]
	v_pk_fma_f32 v[14:15], v[14:15], v[50:51], v[66:67] op_sel:[0,0,1] op_sel_hi:[0,1,0]
	;; [unrolled: 2-line block ×6, first 2 shown]
	v_mov_b32_e32 v39, v9
	v_pk_fma_f32 v[62:63], v[20:21], v[64:65], v[22:23] neg_lo:[0,0,1] neg_hi:[0,0,1]
	v_pk_fma_f32 v[2:3], v[20:21], v[64:65], v[22:23] op_sel_hi:[0,1,1]
	v_pk_add_f32 v[76:77], v[34:35], v[36:37] neg_lo:[0,1] neg_hi:[0,1]
	v_mov_b32_e32 v45, v11
	v_mov_b32_e32 v63, v3
	v_pk_add_f32 v[74:75], v[34:35], v[36:37]
	v_pk_add_f32 v[72:73], v[30:31], v[38:39] neg_lo:[0,1] neg_hi:[0,1]
	v_pk_mul_f32 v[2:3], v[76:77], s[14:15] op_sel:[1,0] op_sel_hi:[0,0]
	v_mov_b32_e32 v47, v13
	v_mov_b32_e32 v53, v19
	v_mov_b32_e32 v55, v5
	v_pk_add_f32 v[68:69], v[30:31], v[38:39]
	v_pk_mul_f32 v[4:5], v[72:73], s[8:9] op_sel:[1,0] op_sel_hi:[0,0]
	v_pk_add_f32 v[12:13], v[44:45], v[62:63] neg_lo:[0,1] neg_hi:[0,1]
	v_pk_fma_f32 v[18:19], v[74:75], s[2:3], v[2:3] op_sel_hi:[1,0,1]
	v_pk_fma_f32 v[20:21], v[74:75], s[2:3], v[2:3] op_sel_hi:[1,0,1] neg_lo:[0,0,1] neg_hi:[0,0,1]
	v_mov_b32_e32 v49, v15
	v_mov_b32_e32 v51, v17
	;; [unrolled: 1-line block ×3, first 2 shown]
	v_pk_add_f32 v[6:7], v[44:45], v[62:63]
	v_pk_fma_f32 v[14:15], v[68:69], s[6:7], v[4:5] op_sel_hi:[1,0,1]
	v_pk_fma_f32 v[16:17], v[68:69], s[6:7], v[4:5] op_sel_hi:[1,0,1] neg_lo:[0,0,1] neg_hi:[0,0,1]
	v_pk_mul_f32 v[2:3], v[12:13], s[12:13] op_sel:[1,0] op_sel_hi:[0,0]
	v_mov_b32_e32 v4, v18
	v_mov_b32_e32 v5, v21
	;; [unrolled: 1-line block ×4, first 2 shown]
	v_pk_fma_f32 v[22:23], v[6:7], s[10:11], v[2:3] op_sel_hi:[1,0,1]
	v_pk_fma_f32 v[32:33], v[6:7], s[10:11], v[2:3] op_sel_hi:[1,0,1] neg_lo:[0,0,1] neg_hi:[0,0,1]
	v_pk_add_f32 v[2:3], v[0:1], v[4:5]
	v_mov_b32_e32 v4, v22
	v_pk_add_f32 v[2:3], v[8:9], v[2:3]
	v_mov_b32_e32 v5, v33
	v_pk_add_f32 v[86:87], v[46:47], v[60:61] neg_lo:[0,1] neg_hi:[0,1]
	v_pk_add_f32 v[2:3], v[4:5], v[2:3]
	v_pk_add_f32 v[78:79], v[46:47], v[60:61]
	v_pk_mul_f32 v[4:5], v[86:87], s[24:25] op_sel:[1,0] op_sel_hi:[0,0]
	v_pk_fma_f32 v[40:41], v[78:79], s[20:21], v[4:5] op_sel_hi:[1,0,1]
	v_pk_fma_f32 v[42:43], v[78:79], s[20:21], v[4:5] op_sel_hi:[1,0,1] neg_lo:[0,0,1] neg_hi:[0,0,1]
	v_mov_b32_e32 v4, v40
	v_mov_b32_e32 v5, v43
	v_pk_add_f32 v[92:93], v[48:49], v[54:55] neg_lo:[0,1] neg_hi:[0,1]
	v_pk_add_f32 v[2:3], v[4:5], v[2:3]
	v_pk_add_f32 v[90:91], v[48:49], v[54:55]
	v_pk_mul_f32 v[4:5], v[92:93], s[18:19] op_sel:[1,0] op_sel_hi:[0,0]
	v_pk_fma_f32 v[56:57], v[90:91], s[16:17], v[4:5] op_sel_hi:[1,0,1]
	v_pk_fma_f32 v[58:59], v[90:91], s[16:17], v[4:5] op_sel_hi:[1,0,1] neg_lo:[0,0,1] neg_hi:[0,0,1]
	v_mov_b32_e32 v4, v56
	v_mov_b32_e32 v5, v59
	v_pk_add_f32 v[84:85], v[4:5], v[2:3]
	v_pk_mul_f32 v[2:3], v[76:77], s[30:31] op_sel:[1,0] op_sel_hi:[0,0]
	v_pk_mul_f32 v[4:5], v[76:77], s[28:29] op_sel:[1,0] op_sel_hi:[0,0]
	v_pk_fma_f32 v[64:65], v[74:75], s[6:7], v[2:3] op_sel_hi:[1,0,1] neg_lo:[0,0,1] neg_hi:[0,0,1]
	v_pk_fma_f32 v[100:101], v[74:75], s[22:23], v[4:5] op_sel_hi:[1,0,1]
	v_pk_mul_f32 v[10:11], v[72:73], s[26:27] op_sel:[1,0] op_sel_hi:[0,0]
	v_pk_mul_f32 v[80:81], v[72:73], s[14:15] op_sel:[1,0] op_sel_hi:[0,0]
	v_mov_b32_e32 v8, v100
	v_mov_b32_e32 v9, v65
	v_pk_fma_f32 v[66:67], v[68:69], s[20:21], v[10:11] op_sel_hi:[1,0,1] neg_lo:[0,0,1] neg_hi:[0,0,1]
	v_pk_fma_f32 v[110:111], v[68:69], s[2:3], v[80:81] op_sel_hi:[1,0,1]
	s_mov_b32 s30, 0x3f6f5d39
	v_pk_add_f32 v[8:9], v[0:1], v[8:9]
	v_mov_b32_e32 v70, v110
	v_mov_b32_e32 v71, v67
	v_pk_mul_f32 v[88:89], v[12:13], s[28:29] op_sel:[1,0] op_sel_hi:[0,0]
	v_pk_mul_f32 v[94:95], v[12:13], s[30:31] op_sel:[1,0] op_sel_hi:[0,0]
	v_pk_add_f32 v[8:9], v[70:71], v[8:9]
	v_pk_fma_f32 v[70:71], v[6:7], s[22:23], v[88:89] op_sel_hi:[1,0,1] neg_lo:[0,0,1] neg_hi:[0,0,1]
	v_pk_fma_f32 v[116:117], v[6:7], s[16:17], v[94:95] op_sel_hi:[1,0,1]
	v_mov_b32_e32 v83, v71
	v_mov_b32_e32 v82, v116
	v_pk_mul_f32 v[96:97], v[78:79], s[16:17] op_sel_hi:[1,0]
	v_pk_mul_f32 v[120:121], v[78:79], s[6:7] op_sel_hi:[1,0]
	v_pk_mul_f32 v[98:99], v[86:87], s[18:19] op_sel:[1,0] op_sel_hi:[0,0]
	v_pk_mul_f32 v[122:123], v[86:87], s[8:9] op_sel:[1,0] op_sel_hi:[0,0]
	v_pk_add_f32 v[8:9], v[82:83], v[8:9]
	v_mov_b32_e32 v82, v97
	v_mov_b32_e32 v83, v120
	v_mov_b32_e32 v102, v99
	v_mov_b32_e32 v103, v122
	v_pk_add_f32 v[104:105], v[82:83], v[102:103] neg_lo:[0,1] neg_hi:[0,1]
	v_pk_add_f32 v[82:83], v[82:83], v[102:103]
	v_pk_fma_f32 v[108:109], v[74:75], s[6:7], v[2:3] op_sel_hi:[1,0,1]
	v_mov_b32_e32 v105, v83
	v_pk_fma_f32 v[82:83], v[74:75], s[22:23], v[4:5] op_sel_hi:[1,0,1] neg_lo:[0,0,1] neg_hi:[0,0,1]
	v_pk_fma_f32 v[106:107], v[68:69], s[20:21], v[10:11] op_sel_hi:[1,0,1]
	v_pk_fma_f32 v[80:81], v[68:69], s[2:3], v[80:81] op_sel_hi:[1,0,1] neg_lo:[0,0,1] neg_hi:[0,0,1]
	v_mov_b32_e32 v2, v108
	v_mov_b32_e32 v3, v83
	v_pk_add_f32 v[2:3], v[0:1], v[2:3]
	v_mov_b32_e32 v4, v106
	v_mov_b32_e32 v5, v81
	v_pk_fma_f32 v[114:115], v[6:7], s[22:23], v[88:89] op_sel_hi:[1,0,1]
	v_pk_fma_f32 v[88:89], v[6:7], s[16:17], v[94:95] op_sel_hi:[1,0,1] neg_lo:[0,0,1] neg_hi:[0,0,1]
	v_pk_add_f32 v[2:3], v[4:5], v[2:3]
	v_mov_b32_e32 v4, v114
	v_mov_b32_e32 v5, v89
	v_pk_add_f32 v[2:3], v[4:5], v[2:3]
	v_pk_mul_f32 v[4:5], v[72:73], s[18:19] op_sel:[1,0] op_sel_hi:[0,0]
	s_mov_b32 s19, s8
	v_pk_fma_f32 v[128:129], v[68:69], s[16:17], v[4:5] op_sel_hi:[1,0,1]
	v_pk_fma_f32 v[94:95], v[68:69], s[16:17], v[4:5] op_sel_hi:[1,0,1] neg_lo:[0,0,1] neg_hi:[0,0,1]
	s_mov_b32 s17, s6
	v_pk_mul_f32 v[4:5], v[86:87], s[18:19] op_sel:[1,0] op_sel_hi:[0,1]
	v_pk_fma_f32 v[10:11], v[78:79], s[16:17], v[4:5]
	v_pk_fma_f32 v[4:5], v[78:79], s[16:17], v[4:5] neg_lo:[0,0,1] neg_hi:[0,0,1]
	v_pk_add_f32 v[8:9], v[104:105], v[8:9] op_sel:[0,1] op_sel_hi:[1,0]
	v_mov_b32_e32 v11, v5
	v_pk_add_f32 v[2:3], v[10:11], v[2:3]
	v_pk_mul_f32 v[4:5], v[92:93], s[12:13] op_sel:[1,0] op_sel_hi:[0,0]
	v_pk_mul_f32 v[10:11], v[92:93], s[26:27] op_sel:[1,0] op_sel_hi:[0,0]
	v_pk_fma_f32 v[104:105], v[90:91], s[10:11], v[4:5] op_sel_hi:[1,0,1] neg_lo:[0,0,1] neg_hi:[0,0,1]
	v_pk_fma_f32 v[136:137], v[90:91], s[20:21], v[10:11] op_sel_hi:[1,0,1]
	v_mov_b32_e32 v102, v105
	v_mov_b32_e32 v103, v136
	v_pk_add_f32 v[196:197], v[50:51], v[52:53] neg_lo:[0,1] neg_hi:[0,1]
	v_pk_add_f32 v[8:9], v[102:103], v[8:9]
	v_pk_fma_f32 v[126:127], v[90:91], s[10:11], v[4:5] op_sel_hi:[1,0,1]
	v_pk_fma_f32 v[102:103], v[90:91], s[20:21], v[10:11] op_sel_hi:[1,0,1] neg_lo:[0,0,1] neg_hi:[0,0,1]
	v_pk_add_f32 v[194:195], v[50:51], v[52:53]
	v_pk_mul_f32 v[10:11], v[196:197], s[14:15] op_sel:[1,0] op_sel_hi:[0,0]
	v_pk_mul_f32 v[112:113], v[196:197], s[12:13] op_sel:[1,0] op_sel_hi:[0,0]
	v_mov_b32_e32 v4, v126
	v_mov_b32_e32 v5, v103
	v_pk_fma_f32 v[118:119], v[194:195], s[2:3], v[10:11] op_sel_hi:[1,0,1] neg_lo:[0,0,1] neg_hi:[0,0,1]
	v_pk_fma_f32 v[144:145], v[194:195], s[10:11], v[112:113] op_sel_hi:[1,0,1]
	v_pk_add_f32 v[2:3], v[4:5], v[2:3]
	v_mov_b32_e32 v4, v119
	v_mov_b32_e32 v5, v144
	v_pk_fma_f32 v[132:133], v[194:195], s[2:3], v[10:11] op_sel_hi:[1,0,1]
	v_pk_fma_f32 v[112:113], v[194:195], s[10:11], v[112:113] op_sel_hi:[1,0,1] neg_lo:[0,0,1] neg_hi:[0,0,1]
	v_pk_add_f32 v[4:5], v[4:5], v[8:9]
	v_mov_b32_e32 v8, v132
	v_mov_b32_e32 v9, v113
	v_pk_add_f32 v[2:3], v[8:9], v[2:3]
	s_mov_b32 s30, 0x3f29c268
	v_pk_mul_f32 v[8:9], v[76:77], s[26:27] op_sel:[1,0] op_sel_hi:[0,0]
	v_pk_mul_f32 v[10:11], v[76:77], s[18:19] op_sel:[1,0] op_sel_hi:[0,0]
	v_pk_fma_f32 v[124:125], v[74:75], s[20:21], v[8:9] op_sel_hi:[1,0,1] neg_lo:[0,0,1] neg_hi:[0,0,1]
	v_pk_fma_f32 v[158:159], v[74:75], s[16:17], v[10:11] op_sel_hi:[1,0,1]
	v_pk_mul_f32 v[138:139], v[72:73], s[30:31] op_sel:[1,0] op_sel_hi:[0,0]
	v_mov_b32_e32 v130, v158
	v_mov_b32_e32 v131, v125
	v_pk_fma_f32 v[168:169], v[68:69], s[10:11], v[138:139] op_sel_hi:[1,0,1]
	v_pk_add_f32 v[130:131], v[0:1], v[130:131]
	v_mov_b32_e32 v134, v168
	v_mov_b32_e32 v135, v95
	v_pk_mul_f32 v[142:143], v[12:13], s[14:15] op_sel:[1,0] op_sel_hi:[0,0]
	v_pk_mul_f32 v[146:147], v[12:13], s[8:9] op_sel:[1,0] op_sel_hi:[0,0]
	v_pk_add_f32 v[134:135], v[134:135], v[130:131]
	v_pk_fma_f32 v[130:131], v[6:7], s[2:3], v[142:143] op_sel_hi:[1,0,1] neg_lo:[0,0,1] neg_hi:[0,0,1]
	v_pk_fma_f32 v[172:173], v[6:7], s[6:7], v[146:147] op_sel_hi:[1,0,1]
	v_mov_b32_e32 v141, v131
	v_mov_b32_e32 v140, v172
	s_mov_b32 s14, 0x3f7e222b
	v_pk_add_f32 v[140:141], v[140:141], v[134:135]
	v_pk_mul_f32 v[134:135], v[92:93], s[14:15] op_sel:[1,0] op_sel_hi:[0,0]
	v_pk_mul_f32 v[182:183], v[86:87], s[28:29] op_sel:[1,0] op_sel_hi:[0,0]
	s_mov_b32 s29, s30
	v_pk_fma_f32 v[150:151], v[90:91], s[22:23], v[134:135] op_sel_hi:[1,0,1]
	v_pk_fma_f32 v[134:135], v[90:91], s[22:23], v[134:135] op_sel_hi:[1,0,1] neg_lo:[0,0,1] neg_hi:[0,0,1]
	v_pk_mul_f32 v[178:179], v[78:79], s[22:23] op_sel_hi:[1,0]
	s_mov_b32 s23, s10
	v_pk_mul_f32 v[148:149], v[86:87], s[28:29] op_sel:[1,0] op_sel_hi:[0,1]
	v_pk_fma_f32 v[152:153], v[78:79], s[22:23], v[148:149]
	v_pk_fma_f32 v[148:149], v[78:79], s[22:23], v[148:149] neg_lo:[0,0,1] neg_hi:[0,0,1]
	v_pk_fma_f32 v[170:171], v[74:75], s[20:21], v[8:9] op_sel_hi:[1,0,1]
	v_mov_b32_e32 v153, v149
	v_pk_add_f32 v[148:149], v[152:153], v[140:141]
	v_pk_fma_f32 v[140:141], v[74:75], s[16:17], v[10:11] op_sel_hi:[1,0,1] neg_lo:[0,0,1] neg_hi:[0,0,1]
	v_pk_fma_f32 v[138:139], v[68:69], s[10:11], v[138:139] op_sel_hi:[1,0,1] neg_lo:[0,0,1] neg_hi:[0,0,1]
	v_mov_b32_e32 v8, v170
	v_mov_b32_e32 v9, v141
	v_pk_add_f32 v[8:9], v[0:1], v[8:9]
	v_mov_b32_e32 v10, v128
	v_mov_b32_e32 v11, v139
	v_pk_fma_f32 v[174:175], v[6:7], s[2:3], v[142:143] op_sel_hi:[1,0,1]
	v_pk_fma_f32 v[142:143], v[6:7], s[6:7], v[146:147] op_sel_hi:[1,0,1] neg_lo:[0,0,1] neg_hi:[0,0,1]
	v_pk_add_f32 v[8:9], v[10:11], v[8:9]
	v_mov_b32_e32 v10, v174
	v_mov_b32_e32 v11, v143
	v_pk_mul_f32 v[176:177], v[78:79], s[10:11] op_sel_hi:[1,0]
	v_pk_mul_f32 v[180:181], v[86:87], s[30:31] op_sel:[1,0] op_sel_hi:[0,0]
	v_pk_add_f32 v[8:9], v[10:11], v[8:9]
	v_mov_b32_e32 v10, v179
	v_mov_b32_e32 v11, v176
	;; [unrolled: 1-line block ×4, first 2 shown]
	v_pk_add_f32 v[152:153], v[10:11], v[146:147] neg_lo:[0,1] neg_hi:[0,1]
	v_pk_add_f32 v[10:11], v[10:11], v[146:147]
	s_mov_b32 s28, 0x3e750f2a
	v_mov_b32_e32 v153, v11
	v_pk_mul_f32 v[10:11], v[92:93], s[28:29] op_sel:[1,0] op_sel_hi:[0,0]
	v_pk_fma_f32 v[186:187], v[90:91], s[2:3], v[10:11] op_sel_hi:[1,0,1]
	v_mov_b32_e32 v147, v135
	v_mov_b32_e32 v146, v186
	v_pk_add_f32 v[148:149], v[146:147], v[148:149]
	v_pk_fma_f32 v[146:147], v[90:91], s[2:3], v[10:11] op_sel_hi:[1,0,1] neg_lo:[0,0,1] neg_hi:[0,0,1]
	v_pk_mul_f32 v[154:155], v[196:197], s[8:9] op_sel:[1,0] op_sel_hi:[0,0]
	v_pk_mul_f32 v[156:157], v[196:197], s[24:25] op_sel:[1,0] op_sel_hi:[0,0]
	v_pk_add_f32 v[8:9], v[152:153], v[8:9] op_sel:[0,1] op_sel_hi:[1,0]
	v_mov_b32_e32 v10, v147
	v_mov_b32_e32 v11, v150
	v_pk_fma_f32 v[152:153], v[194:195], s[6:7], v[154:155] op_sel_hi:[1,0,1] neg_lo:[0,0,1] neg_hi:[0,0,1]
	v_pk_fma_f32 v[188:189], v[194:195], s[20:21], v[156:157] op_sel_hi:[1,0,1]
	v_pk_add_f32 v[10:11], v[10:11], v[8:9]
	v_mov_b32_e32 v8, v188
	v_mov_b32_e32 v9, v153
	v_pk_add_f32 v[8:9], v[8:9], v[148:149]
	v_pk_fma_f32 v[184:185], v[194:195], s[6:7], v[154:155] op_sel_hi:[1,0,1]
	v_pk_fma_f32 v[148:149], v[194:195], s[20:21], v[156:157] op_sel_hi:[1,0,1] neg_lo:[0,0,1] neg_hi:[0,0,1]
	v_mov_b32_e32 v155, v184
	v_mov_b32_e32 v154, v149
	v_pk_add_f32 v[10:11], v[154:155], v[10:11]
	v_pk_mul_f32 v[154:155], v[76:77], s[12:13] op_sel:[1,0] op_sel_hi:[0,0]
	v_pk_fma_f32 v[76:77], v[74:75], s[10:11], v[154:155] op_sel_hi:[1,0,1]
	v_pk_fma_f32 v[74:75], v[74:75], s[10:11], v[154:155] op_sel_hi:[1,0,1] neg_lo:[0,0,1] neg_hi:[0,0,1]
	v_pk_mul_f32 v[154:155], v[72:73], s[14:15] op_sel:[1,0] op_sel_hi:[0,0]
	v_pk_fma_f32 v[72:73], v[68:69], s[22:23], v[154:155] op_sel_hi:[1,0,1]
	v_pk_fma_f32 v[68:69], v[68:69], s[22:23], v[154:155] op_sel_hi:[1,0,1] neg_lo:[0,0,1] neg_hi:[0,0,1]
	v_mov_b32_e32 v154, v76
	v_mov_b32_e32 v155, v75
	v_pk_add_f32 v[154:155], v[0:1], v[154:155]
	v_mov_b32_e32 v156, v72
	v_mov_b32_e32 v157, v69
	v_pk_mul_f32 v[12:13], v[12:13], s[26:27] op_sel:[1,0] op_sel_hi:[0,0]
	v_pk_add_f32 v[160:161], v[156:157], v[154:155]
	v_pk_fma_f32 v[154:155], v[6:7], s[20:21], v[12:13] op_sel_hi:[1,0,1]
	v_pk_fma_f32 v[156:157], v[6:7], s[20:21], v[12:13] op_sel_hi:[1,0,1] neg_lo:[0,0,1] neg_hi:[0,0,1]
	v_mov_b32_e32 v6, v154
	v_mov_b32_e32 v7, v157
	v_pk_mul_f32 v[12:13], v[86:87], s[28:29] op_sel:[1,0] op_sel_hi:[0,0]
	v_pk_add_f32 v[6:7], v[6:7], v[160:161]
	v_pk_fma_f32 v[160:161], v[78:79], s[2:3], v[12:13] op_sel_hi:[1,0,1]
	v_pk_fma_f32 v[162:163], v[78:79], s[2:3], v[12:13] op_sel_hi:[1,0,1] neg_lo:[0,0,1] neg_hi:[0,0,1]
	v_mov_b32_e32 v12, v160
	v_mov_b32_e32 v13, v163
	v_pk_add_f32 v[6:7], v[12:13], v[6:7]
	v_pk_mul_f32 v[12:13], v[92:93], s[8:9] op_sel:[1,0] op_sel_hi:[0,0]
	v_pk_fma_f32 v[92:93], v[90:91], s[6:7], v[12:13] op_sel_hi:[1,0,1]
	v_pk_fma_f32 v[90:91], v[90:91], s[6:7], v[12:13] op_sel_hi:[1,0,1] neg_lo:[0,0,1] neg_hi:[0,0,1]
	v_mov_b32_e32 v12, v92
	v_mov_b32_e32 v13, v91
	v_pk_add_f32 v[6:7], v[12:13], v[6:7]
	v_pk_mul_f32 v[12:13], v[196:197], s[18:19] op_sel:[1,0] op_sel_hi:[0,0]
	v_pk_fma_f32 v[164:165], v[194:195], s[16:17], v[12:13] op_sel_hi:[1,0,1]
	v_pk_fma_f32 v[166:167], v[194:195], s[16:17], v[12:13] op_sel_hi:[1,0,1] neg_lo:[0,0,1] neg_hi:[0,0,1]
	v_mov_b32_e32 v12, v164
	v_mov_b32_e32 v13, v167
	v_pk_add_f32 v[12:13], v[12:13], v[6:7]
	v_pk_mul_f32 v[6:7], v[196:197], s[14:15] op_sel:[1,0] op_sel_hi:[0,0]
	v_pk_fma_f32 v[78:79], v[194:195], s[22:23], v[6:7] op_sel_hi:[1,0,1]
	v_pk_fma_f32 v[86:87], v[194:195], s[22:23], v[6:7] op_sel_hi:[1,0,1] neg_lo:[0,0,1] neg_hi:[0,0,1]
	v_mov_b32_e32 v6, v78
	v_mov_b32_e32 v7, v87
	v_pk_add_f32 v[6:7], v[6:7], v[84:85]
	s_and_saveexec_b64 s[2:3], vcc
	s_cbranch_execz .LBB0_21
; %bb.20:
	v_add_f32_e32 v35, v1, v35
	v_add_f32_e32 v34, v0, v34
	v_pk_add_f32 v[30:31], v[34:35], v[30:31]
	v_mov_b32_e32 v65, v109
	v_pk_add_f32 v[30:31], v[30:31], v[44:45]
	v_mov_b32_e32 v67, v107
	v_pk_add_f32 v[30:31], v[30:31], v[46:47]
	v_pk_add_f32 v[34:35], v[0:1], v[64:65]
	;; [unrolled: 1-line block ×3, first 2 shown]
	v_mov_b32_e32 v71, v115
	v_pk_add_f32 v[30:31], v[30:31], v[50:51]
	v_pk_add_f32 v[106:107], v[96:97], v[98:99] neg_lo:[0,1] neg_hi:[0,1]
	v_pk_add_f32 v[30:31], v[30:31], v[52:53]
	v_pk_add_f32 v[96:97], v[96:97], v[98:99]
	;; [unrolled: 1-line block ×4, first 2 shown]
	v_mov_b32_e32 v107, v97
	v_pk_add_f32 v[30:31], v[30:31], v[60:61]
	v_pk_add_f32 v[34:35], v[70:71], v[34:35]
	v_mov_b32_e32 v105, v127
	v_mov_b32_e32 v17, 3
	v_pk_add_f32 v[30:31], v[30:31], v[62:63]
	v_pk_add_f32 v[34:35], v[106:107], v[34:35]
	v_mov_b32_e32 v119, v133
	v_mul_u32_u24_e32 v14, 0x410, v191
	v_lshlrev_b32_sdwa v17, v17, v192 dst_sel:DWORD dst_unused:UNUSED_PAD src0_sel:DWORD src1_sel:BYTE_0
	v_pk_add_f32 v[30:31], v[30:31], v[38:39]
	v_pk_add_f32 v[34:35], v[104:105], v[34:35]
	v_mov_b32_e32 v83, v101
	v_mov_b32_e32 v125, v171
	v_add3_u32 v18, 0, v14, v17
	v_pk_add_f32 v[30:31], v[30:31], v[36:37]
	v_pk_add_f32 v[34:35], v[118:119], v[34:35]
	v_mov_b32_e32 v81, v111
	v_pk_add_f32 v[100:101], v[120:121], v[122:123] neg_lo:[0,1] neg_hi:[0,1]
	v_pk_add_f32 v[110:111], v[120:121], v[122:123]
	v_mov_b32_e32 v95, v129
	ds_write2_b64 v18, v[30:31], v[34:35] offset1:10
	v_pk_add_f32 v[30:31], v[0:1], v[124:125]
	v_pk_add_f32 v[34:35], v[0:1], v[82:83]
	v_mov_b32_e32 v89, v117
	v_mov_b32_e32 v101, v111
	;; [unrolled: 1-line block ×3, first 2 shown]
	v_pk_add_f32 v[110:111], v[176:177], v[180:181] neg_lo:[0,1] neg_hi:[0,1]
	v_pk_add_f32 v[116:117], v[176:177], v[180:181]
	v_pk_add_f32 v[30:31], v[94:95], v[30:31]
	v_pk_add_f32 v[34:35], v[80:81], v[34:35]
	v_mov_b32_e32 v111, v117
	v_pk_add_f32 v[30:31], v[130:131], v[30:31]
	v_pk_add_f32 v[34:35], v[88:89], v[34:35]
	v_mov_b32_e32 v103, v137
	v_mov_b32_e32 v135, v151
	v_pk_add_f32 v[30:31], v[110:111], v[30:31]
	v_pk_add_f32 v[34:35], v[100:101], v[34:35]
	v_mov_b32_e32 v113, v145
	v_mov_b32_e32 v153, v185
	v_pk_add_f32 v[30:31], v[134:135], v[30:31]
	v_pk_add_f32 v[34:35], v[102:103], v[34:35]
	v_mov_b32_e32 v141, v159
	v_pk_add_f32 v[30:31], v[152:153], v[30:31]
	v_pk_add_f32 v[34:35], v[112:113], v[34:35]
	v_mov_b32_e32 v75, v77
	v_mov_b32_e32 v21, v19
	ds_write2_b64 v18, v[30:31], v[34:35] offset0:20 offset1:30
	v_pk_add_f32 v[30:31], v[0:1], v[140:141]
	v_pk_add_f32 v[34:35], v[0:1], v[74:75]
	;; [unrolled: 1-line block ×3, first 2 shown]
	v_mov_b32_e32 v17, v15
	v_pk_add_f32 v[0:1], v[16:17], v[0:1]
	v_mov_b32_e32 v33, v23
	v_pk_add_f32 v[0:1], v[32:33], v[0:1]
	v_mov_b32_e32 v43, v41
	v_mov_b32_e32 v139, v169
	v_mov_b32_e32 v69, v73
	v_pk_add_f32 v[0:1], v[42:43], v[0:1]
	v_mov_b32_e32 v59, v57
	v_mov_b32_e32 v143, v173
	v_pk_add_f32 v[84:85], v[178:179], v[182:183] neg_lo:[0,1] neg_hi:[0,1]
	v_pk_add_f32 v[158:159], v[178:179], v[182:183]
	v_pk_add_f32 v[30:31], v[138:139], v[30:31]
	v_pk_add_f32 v[34:35], v[68:69], v[34:35]
	v_mov_b32_e32 v157, v155
	v_pk_add_f32 v[0:1], v[58:59], v[0:1]
	v_mov_b32_e32 v87, v79
	v_mov_b32_e32 v85, v159
	v_pk_add_f32 v[30:31], v[142:143], v[30:31]
	v_pk_add_f32 v[34:35], v[156:157], v[34:35]
	v_mov_b32_e32 v163, v161
	v_pk_add_f32 v[0:1], v[86:87], v[0:1]
	v_mov_b32_e32 v147, v187
	v_pk_add_f32 v[30:31], v[84:85], v[30:31]
	v_pk_add_f32 v[34:35], v[162:163], v[34:35]
	v_mov_b32_e32 v91, v93
	ds_write2_b64 v18, v[0:1], v[6:7] offset0:60 offset1:70
	v_mov_b32_e32 v0, v8
	v_mov_b32_e32 v1, v10
	;; [unrolled: 1-line block ×3, first 2 shown]
	v_pk_add_f32 v[30:31], v[146:147], v[30:31]
	v_pk_add_f32 v[34:35], v[90:91], v[34:35]
	v_mov_b32_e32 v167, v165
	ds_write2_b64 v18, v[12:13], v[0:1] offset0:80 offset1:90
	v_mov_b32_e32 v0, v5
	v_mov_b32_e32 v1, v3
	;; [unrolled: 1-line block ×4, first 2 shown]
	v_pk_add_f32 v[30:31], v[148:149], v[30:31]
	v_pk_add_f32 v[34:35], v[166:167], v[34:35]
	ds_write2_b64 v18, v[0:1], v[14:15] offset0:100 offset1:110
	v_mov_b32_e32 v0, v2
	v_mov_b32_e32 v1, v4
	ds_write2_b64 v18, v[30:31], v[34:35] offset0:40 offset1:50
	ds_write_b64 v18, v[0:1] offset:960
.LBB0_21:
	s_or_b64 exec, exec, s[2:3]
	s_waitcnt lgkmcnt(0)
	s_barrier
	ds_read_b64 v[20:21], v190
	ds_read_b64 v[22:23], v190 offset:2080
	ds_read_b64 v[32:33], v190 offset:4160
	;; [unrolled: 1-line block ×6, first 2 shown]
	s_movk_i32 s2, 0x4e
	v_cmp_gt_u32_e32 vcc, s2, v26
	s_movk_i32 s2, 0x4d
	v_cmp_lt_u32_e64 s[2:3], s2, v26
                                        ; implicit-def: $vgpr16_vgpr17
                                        ; implicit-def: $vgpr14_vgpr15
                                        ; implicit-def: $vgpr0_vgpr1
	s_and_saveexec_b64 s[6:7], s[2:3]
	s_xor_b64 s[2:3], exec, s[6:7]
; %bb.22:
	v_mov_b64_e32 v[16:17], v[2:3]
	v_mov_b64_e32 v[14:15], v[4:5]
	v_mov_b64_e32 v[0:1], v[10:11]
; %bb.23:
	s_or_saveexec_b64 s[2:3], s[2:3]
                                        ; implicit-def: $vgpr18
	s_xor_b64 exec, exec, s[2:3]
	s_cbranch_execz .LBB0_25
; %bb.24:
	v_add_u32_e32 v0, 0x1400, v190
	ds_read2_b32 v[4:5], v0 offset0:124 offset1:125
	ds_read_b64 v[40:41], v190 offset:9776
	ds_read_b64 v[6:7], v190 offset:1456
	ds_read_b64 v[12:13], v190 offset:3536
	ds_read_b64 v[42:43], v190 offset:7696
	ds_read_b64 v[2:3], v190 offset:11856
	ds_read_b64 v[18:19], v190 offset:13936
	s_waitcnt lgkmcnt(6)
	v_mov_b32_e32 v0, v5
	s_waitcnt lgkmcnt(5)
	v_mov_b32_e32 v1, v40
	v_mov_b32_e32 v8, v4
	;; [unrolled: 1-line block ×3, first 2 shown]
	s_waitcnt lgkmcnt(1)
	v_mov_b32_e32 v14, v3
	v_mov_b32_e32 v15, v42
	;; [unrolled: 1-line block ×9, first 2 shown]
.LBB0_25:
	s_or_b64 exec, exec, s[2:3]
	s_movk_i32 s2, 0x82
	v_add_u32_e32 v40, 0xffffff7e, v26
	v_cmp_gt_u32_e64 s[2:3], s2, v26
	v_mov_b32_e32 v41, 0
	v_mov_b32_e32 v63, 0x1c70
	v_cndmask_b32_e64 v61, v40, v26, s[2:3]
	v_mul_i32_i24_e32 v40, 6, v61
	v_lshl_add_u64 v[52:53], v[40:41], 3, s[4:5]
	global_load_dwordx4 v[40:43], v[52:53], off offset:960
	global_load_dwordx4 v[44:47], v[52:53], off offset:976
	;; [unrolled: 1-line block ×3, first 2 shown]
	s_movk_i32 s2, 0x81
	v_cmp_lt_u32_e64 s[2:3], s2, v26
	v_lshlrev_b32_e32 v61, 3, v61
	s_waitcnt lgkmcnt(4)
	v_mov_b32_e32 v52, v33
	v_cndmask_b32_e64 v63, 0, v63, s[2:3]
	v_mov_b32_e32 v54, v32
	s_waitcnt lgkmcnt(2)
	v_mov_b32_e32 v55, v37
	s_waitcnt lgkmcnt(1)
	v_mov_b32_e32 v56, v34
	v_mov_b32_e32 v57, v39
	;; [unrolled: 1-line block ×4, first 2 shown]
	v_add3_u32 v63, 0, v63, v61
	v_mov_b32_e32 v53, v36
	v_mov_b32_e32 v59, v38
	s_waitcnt lgkmcnt(0)
	v_mov_b32_e32 v62, v31
	s_mov_b32 s8, 0x3eae86e6
	s_mov_b32 s9, 0xbf08b237
	;; [unrolled: 1-line block ×10, first 2 shown]
	s_barrier
	s_mov_b32 s10, 0x3f5ff5aa
	s_mov_b32 s14, 0x3f3bfb3b
	s_waitcnt vmcnt(2)
	v_mul_f32_e32 v72, v43, v33
	s_waitcnt vmcnt(1)
	v_mul_f32_e32 v33, v44, v39
	v_mul_f32_e32 v37, v46, v37
	v_mul_f32_e32 v61, v47, v36
	s_waitcnt vmcnt(0)
	v_mul_f32_e32 v35, v49, v35
	v_pk_mul_f32 v[64:65], v[40:41], v[22:23] op_sel_hi:[1,0]
	v_mov_b32_e32 v67, v46
	v_mov_b32_e32 v46, v43
	v_mov_b32_e32 v69, v44
	v_mov_b32_e32 v44, v49
	v_mul_f32_e32 v39, v45, v38
	v_mov_b32_e32 v66, v42
	v_mov_b32_e32 v68, v48
	v_pk_mul_f32 v[70:71], v[50:51], v[30:31] op_sel_hi:[1,0]
	v_fma_f32 v38, v48, v34, -v35
	v_pk_fma_f32 v[34:35], v[40:41], v[60:61], v[64:65] op_sel:[0,0,1] op_sel_hi:[1,1,0]
	v_pk_fma_f32 v[22:23], v[40:41], v[22:23], v[64:65] op_sel:[0,1,1] op_sel_hi:[1,1,0] neg_lo:[1,0,0] neg_hi:[1,0,0]
	v_pk_mul_f32 v[40:41], v[46:47], v[54:55]
	v_pk_mul_f32 v[44:45], v[44:45], v[56:57]
	v_fma_f32 v32, v42, v32, -v72
	v_pk_fma_f32 v[46:47], v[50:51], v[62:63], v[70:71] op_sel:[0,0,1] op_sel_hi:[1,1,0]
	v_pk_fma_f32 v[30:31], v[50:51], v[30:31], v[70:71] op_sel:[0,1,1] op_sel_hi:[1,1,0] neg_lo:[1,0,0] neg_hi:[1,0,0]
	v_pk_fma_f32 v[42:43], v[42:43], v[52:53], v[40:41]
	v_pk_fma_f32 v[40:41], v[66:67], v[52:53], v[40:41] neg_lo:[0,0,1] neg_hi:[0,0,1]
	v_pk_fma_f32 v[48:49], v[48:49], v[58:59], v[44:45]
	v_pk_fma_f32 v[44:45], v[68:69], v[58:59], v[44:45] neg_lo:[0,0,1] neg_hi:[0,0,1]
	v_mov_b32_e32 v35, v23
	v_mov_b32_e32 v47, v31
	v_mov_b32_e32 v36, v23
	v_mov_b32_e32 v60, v31
	v_mov_b32_e32 v43, v41
	v_mov_b32_e32 v49, v45
	v_pk_add_f32 v[50:51], v[32:33], v[38:39]
	v_mov_b32_e32 v23, v32
	v_mov_b32_e32 v31, v38
	v_pk_add_f32 v[32:33], v[34:35], v[46:47]
	v_pk_add_f32 v[36:37], v[36:37], v[60:61]
	v_mov_b32_e32 v38, v45
	v_pk_add_f32 v[44:45], v[42:43], v[48:49]
	v_mov_b32_e32 v30, v51
	v_mov_b32_e32 v40, v41
	;; [unrolled: 1-line block ×5, first 2 shown]
	v_pk_add_f32 v[34:35], v[34:35], v[46:47] neg_lo:[0,1] neg_hi:[0,1]
	v_pk_add_f32 v[52:53], v[50:51], v[36:37]
	v_pk_add_f32 v[22:23], v[22:23], v[30:31] neg_lo:[0,1] neg_hi:[0,1]
	v_pk_add_f32 v[38:39], v[38:39], v[40:41]
	v_pk_add_f32 v[42:43], v[42:43], v[48:49] neg_lo:[0,1] neg_hi:[0,1]
	v_mov_b32_e32 v49, v35
	v_mov_b32_e32 v48, v22
	;; [unrolled: 1-line block ×7, first 2 shown]
	v_pk_add_f32 v[48:49], v[48:49], v[42:43] neg_lo:[0,1] neg_hi:[0,1]
	v_pk_add_f32 v[54:55], v[54:55], v[50:51] neg_lo:[0,1] neg_hi:[0,1]
	v_mov_b32_e32 v37, v53
	v_mov_b32_e32 v56, v38
	;; [unrolled: 1-line block ×3, first 2 shown]
	v_pk_add_f32 v[38:39], v[52:53], v[38:39]
	v_pk_add_f32 v[30:31], v[46:47], v[22:23] neg_lo:[0,1] neg_hi:[0,1]
	v_pk_add_f32 v[46:47], v[42:43], v[22:23]
	v_pk_mul_f32 v[48:49], v[48:49], s[2:3]
	v_pk_add_f32 v[56:57], v[36:37], v[56:57] neg_lo:[0,1] neg_hi:[0,1]
	v_pk_add_f32 v[20:21], v[38:39], v[20:21]
	v_pk_mul_f32 v[52:53], v[54:55], s[12:13]
	v_pk_mul_f32 v[40:41], v[30:31], s[8:9]
	v_pk_add_f32 v[46:47], v[46:47], v[34:35]
	v_pk_mul_f32 v[54:55], v[56:57], s[18:19]
	v_pk_fma_f32 v[38:39], v[38:39], s[16:17], v[20:21] op_sel_hi:[1,0,1]
	v_pk_fma_f32 v[56:57], v[56:57], s[18:19], v[52:53]
	v_pk_fma_f32 v[30:31], v[30:31], s[8:9], v[48:49]
	v_pk_add_f32 v[56:57], v[56:57], v[38:39]
	v_pk_fma_f32 v[30:31], v[46:47], s[6:7], v[30:31] op_sel_hi:[1,0,1]
	v_mov_b32_e32 v43, v23
	v_pk_add_f32 v[58:59], v[56:57], v[30:31]
	v_pk_add_f32 v[30:31], v[56:57], v[30:31] neg_lo:[0,1] neg_hi:[0,1]
	v_mov_b32_e32 v56, v58
	v_mov_b32_e32 v57, v31
	;; [unrolled: 1-line block ×4, first 2 shown]
	ds_write2_b64 v63, v[20:21], v[56:57] offset1:130
	v_pk_add_f32 v[20:21], v[42:43], v[34:35] neg_lo:[0,1] neg_hi:[0,1]
	v_pk_add_f32 v[22:23], v[50:51], v[36:37] neg_lo:[0,1] neg_hi:[0,1]
	v_mov_b32_e32 v32, v54
	v_mov_b32_e32 v33, v53
	;; [unrolled: 1-line block ×6, first 2 shown]
	v_pk_fma_f32 v[32:33], v[22:23], s[14:15], v[32:33] op_sel_hi:[1,0,1] neg_lo:[1,0,1] neg_hi:[1,0,1]
	v_pk_fma_f32 v[34:35], v[20:21], s[10:11], v[34:35] op_sel_hi:[1,0,1] neg_lo:[1,0,1] neg_hi:[1,0,1]
	;; [unrolled: 1-line block ×4, first 2 shown]
	v_pk_add_f32 v[32:33], v[32:33], v[38:39]
	v_pk_fma_f32 v[34:35], v[46:47], s[6:7], v[34:35] op_sel_hi:[1,0,1]
	v_pk_add_f32 v[22:23], v[22:23], v[38:39]
	v_pk_fma_f32 v[20:21], v[46:47], s[6:7], v[20:21] op_sel_hi:[1,0,1]
	v_pk_add_f32 v[36:37], v[32:33], v[34:35]
	v_pk_add_f32 v[32:33], v[32:33], v[34:35] neg_lo:[0,1] neg_hi:[0,1]
	v_pk_add_f32 v[38:39], v[22:23], v[20:21] neg_lo:[0,1] neg_hi:[0,1]
	v_pk_add_f32 v[20:21], v[22:23], v[20:21]
	v_mov_b32_e32 v34, v36
	v_mov_b32_e32 v35, v33
	v_mov_b32_e32 v22, v38
	v_mov_b32_e32 v23, v21
	v_add_u32_e32 v21, 0x800, v63
	ds_write2_b64 v21, v[34:35], v[22:23] offset0:4 offset1:134
	v_mov_b32_e32 v21, v39
	v_mov_b32_e32 v33, v37
	s_movk_i32 s7, 0x1000
	v_add_u32_e32 v22, 0x1000, v63
	v_mov_b32_e32 v31, v59
	ds_write2_b64 v22, v[20:21], v[32:33] offset0:8 offset1:138
	ds_write_b64 v63, v[30:31] offset:6240
	s_and_saveexec_b64 s[20:21], vcc
	s_cbranch_execz .LBB0_27
; %bb.26:
	v_add_u32_e32 v20, 0xb6, v26
	s_movk_i32 s11, 0xfc1
	v_mul_u32_u24_sdwa v21, v20, s11 dst_sel:DWORD dst_unused:UNUSED_PAD src0_sel:WORD_0 src1_sel:DWORD
	v_lshrrev_b32_e32 v21, 19, v21
	v_mul_lo_u16_e32 v21, 0x82, v21
	v_sub_u16_e32 v39, v20, v21
	v_mul_u32_u24_e32 v20, 6, v39
	v_lshlrev_b32_e32 v38, 3, v20
	global_load_dwordx4 v[20:23], v38, s[4:5] offset:960
	global_load_dwordx4 v[30:33], v38, s[4:5] offset:992
	;; [unrolled: 1-line block ×3, first 2 shown]
	v_lshl_add_u32 v39, v39, 3, 0
	v_mov_b32_e32 v38, v13
	v_mov_b32_e32 v40, v19
	;; [unrolled: 1-line block ×3, first 2 shown]
	v_add_u32_e32 v41, 0x1c00, v39
	s_waitcnt vmcnt(2)
	v_pk_mul_f32 v[12:13], v[12:13], v[20:21] op_sel_hi:[0,1]
	s_waitcnt vmcnt(1)
	v_pk_mul_f32 v[18:19], v[18:19], v[32:33] op_sel_hi:[0,1]
	v_mov_b32_e32 v46, v23
	s_waitcnt vmcnt(0)
	v_mov_b32_e32 v47, v37
	v_mov_b32_e32 v50, v31
	;; [unrolled: 1-line block ×3, first 2 shown]
	v_mul_f32_e32 v10, v10, v23
	v_mov_b32_e32 v44, v22
	v_mov_b32_e32 v45, v36
	;; [unrolled: 1-line block ×4, first 2 shown]
	v_mul_f32_e32 v4, v4, v31
	v_mul_f32_e32 v5, v5, v35
	;; [unrolled: 1-line block ×5, first 2 shown]
	v_pk_mul_f32 v[36:37], v[8:9], v[46:47]
	v_pk_mul_f32 v[16:17], v[16:17], v[50:51]
	v_fma_f32 v34, v8, v22, -v10
	v_pk_fma_f32 v[8:9], v[40:41], v[32:33], v[18:19] op_sel:[0,0,1] op_sel_hi:[0,1,0]
	v_pk_fma_f32 v[18:19], v[40:41], v[32:33], v[18:19] op_sel:[0,0,1] op_sel_hi:[0,1,0] neg_lo:[1,0,0] neg_hi:[1,0,0]
	v_pk_fma_f32 v[32:33], v[38:39], v[20:21], v[12:13] op_sel:[0,0,1] op_sel_hi:[1,1,0]
	v_pk_fma_f32 v[12:13], v[42:43], v[20:21], v[12:13] op_sel:[0,0,1] op_sel_hi:[0,1,0] neg_lo:[1,0,0] neg_hi:[1,0,0]
	v_fma_f32 v4, v2, v30, -v4
	v_pk_fma_f32 v[30:31], v[14:15], v[30:31], v[16:17]
	v_pk_fma_f32 v[14:15], v[14:15], v[48:49], v[16:17] neg_lo:[0,0,1] neg_hi:[0,0,1]
	v_pk_fma_f32 v[16:17], v[0:1], v[22:23], v[36:37]
	v_pk_fma_f32 v[0:1], v[0:1], v[44:45], v[36:37] neg_lo:[0,0,1] neg_hi:[0,0,1]
	v_mov_b32_e32 v10, v13
	v_mov_b32_e32 v2, v19
	v_pk_add_f32 v[20:21], v[34:35], v[4:5]
	v_mov_b32_e32 v9, v19
	v_mov_b32_e32 v33, v13
	;; [unrolled: 1-line block ×4, first 2 shown]
	v_pk_add_f32 v[2:3], v[10:11], v[2:3]
	v_mov_b32_e32 v5, v34
	v_mov_b32_e32 v13, v4
	v_pk_add_f32 v[18:19], v[32:33], v[8:9]
	v_mov_b32_e32 v12, v21
	v_mov_b32_e32 v0, v15
	v_pk_add_f32 v[14:15], v[16:17], v[30:31]
	v_mov_b32_e32 v4, v3
	v_pk_add_f32 v[8:9], v[32:33], v[8:9] neg_lo:[0,1] neg_hi:[0,1]
	v_mov_b32_e32 v10, v1
	v_mov_b32_e32 v11, v18
	v_pk_add_f32 v[4:5], v[4:5], v[12:13] neg_lo:[0,1] neg_hi:[0,1]
	v_mov_b32_e32 v1, v14
	v_pk_add_f32 v[16:17], v[16:17], v[30:31] neg_lo:[0,1] neg_hi:[0,1]
	v_mov_b32_e32 v23, v9
	v_pk_add_f32 v[32:33], v[20:21], v[2:3]
	v_mov_b32_e32 v22, v4
	v_pk_add_f32 v[0:1], v[0:1], v[10:11]
	v_mov_b32_e32 v30, v8
	v_mov_b32_e32 v31, v17
	;; [unrolled: 1-line block ×4, first 2 shown]
	v_pk_add_f32 v[10:11], v[22:23], v[16:17] neg_lo:[0,1] neg_hi:[0,1]
	v_pk_add_f32 v[32:33], v[32:33], v[0:1]
	v_mov_b32_e32 v1, v14
	v_pk_add_f32 v[12:13], v[16:17], v[4:5]
	v_pk_add_f32 v[30:31], v[30:31], v[4:5] neg_lo:[0,1] neg_hi:[0,1]
	v_mov_b32_e32 v17, v5
	v_pk_mul_f32 v[4:5], v[10:11], s[2:3]
	v_pk_add_f32 v[10:11], v[2:3], v[0:1] neg_lo:[0,1] neg_hi:[0,1]
	v_mov_b32_e32 v1, v18
	v_pk_add_f32 v[0:1], v[0:1], v[20:21] neg_lo:[0,1] neg_hi:[0,1]
	v_pk_add_f32 v[6:7], v[6:7], v[32:33]
	v_pk_mul_f32 v[0:1], v[0:1], s[12:13]
	v_pk_add_f32 v[12:13], v[12:13], v[8:9]
	v_pk_mul_f32 v[22:23], v[30:31], s[8:9]
	v_pk_add_f32 v[8:9], v[16:17], v[8:9] neg_lo:[0,1] neg_hi:[0,1]
	v_mov_b32_e32 v3, v18
	v_pk_mul_f32 v[16:17], v[10:11], s[18:19]
	v_pk_fma_f32 v[18:19], v[32:33], s[16:17], v[6:7] op_sel_hi:[1,0,1]
	v_pk_fma_f32 v[30:31], v[30:31], s[8:9], v[4:5]
	v_pk_fma_f32 v[10:11], v[10:11], s[18:19], v[0:1]
	v_mov_b32_e32 v21, v14
	v_pk_fma_f32 v[14:15], v[12:13], s[6:7], v[30:31] op_sel_hi:[1,0,1]
	v_pk_add_f32 v[10:11], v[10:11], v[18:19]
	v_mov_b32_e32 v30, v16
	v_pk_add_f32 v[32:33], v[10:11], v[14:15]
	v_pk_add_f32 v[10:11], v[10:11], v[14:15] neg_lo:[0,1] neg_hi:[0,1]
	v_mov_b32_e32 v14, v32
	v_mov_b32_e32 v15, v11
	;; [unrolled: 1-line block ×3, first 2 shown]
	ds_write2_b64 v41, v[6:7], v[14:15] offset0:14 offset1:144
	v_pk_add_f32 v[2:3], v[20:21], v[2:3] neg_lo:[0,1] neg_hi:[0,1]
	v_mov_b32_e32 v14, v22
	v_mov_b32_e32 v15, v5
	;; [unrolled: 1-line block ×4, first 2 shown]
	v_pk_fma_f32 v[6:7], v[2:3], s[14:15], v[30:31] op_sel_hi:[1,0,1] neg_lo:[1,0,1] neg_hi:[1,0,1]
	v_pk_fma_f32 v[14:15], v[8:9], s[10:11], v[14:15] op_sel_hi:[1,0,1] neg_lo:[1,0,1] neg_hi:[1,0,1]
	;; [unrolled: 1-line block ×4, first 2 shown]
	v_pk_add_f32 v[6:7], v[6:7], v[18:19]
	v_pk_fma_f32 v[14:15], v[12:13], s[6:7], v[14:15] op_sel_hi:[1,0,1]
	v_pk_fma_f32 v[4:5], v[12:13], s[6:7], v[4:5] op_sel_hi:[1,0,1]
	v_pk_add_f32 v[0:1], v[0:1], v[18:19]
	v_pk_add_f32 v[20:21], v[6:7], v[14:15]
	v_pk_add_f32 v[6:7], v[6:7], v[14:15] neg_lo:[0,1] neg_hi:[0,1]
	v_pk_add_f32 v[2:3], v[0:1], v[4:5] neg_lo:[0,1] neg_hi:[0,1]
	v_pk_add_f32 v[0:1], v[0:1], v[4:5]
	v_mov_b32_e32 v14, v20
	v_mov_b32_e32 v15, v7
	;; [unrolled: 1-line block ×4, first 2 shown]
	v_add_u32_e32 v1, 0x2400, v39
	ds_write2_b64 v1, v[14:15], v[4:5] offset0:18 offset1:148
	v_mov_b32_e32 v1, v3
	v_mov_b32_e32 v7, v21
	v_add_u32_e32 v2, 0x2c00, v39
	v_mov_b32_e32 v11, v33
	ds_write2_b64 v2, v[0:1], v[6:7] offset0:22 offset1:152
	ds_write_b64 v39, v[10:11] offset:13520
.LBB0_27:
	s_or_b64 exec, exec, s[20:21]
	v_lshl_add_u64 v[0:1], v[28:29], 3, s[4:5]
	v_add_co_u32_e32 v0, vcc, s7, v0
	s_movk_i32 s2, 0x2000
	v_lshl_add_u64 v[2:3], v[26:27], 3, s[4:5]
	v_addc_co_u32_e32 v1, vcc, 0, v1, vcc
	v_add_co_u32_e32 v4, vcc, s2, v2
	s_movk_i32 s2, 0x3000
	s_nop 0
	v_addc_co_u32_e32 v5, vcc, 0, v3, vcc
	s_waitcnt lgkmcnt(0)
	s_barrier
	global_load_dwordx2 v[20:21], v[0:1], off offset:3104
	global_load_dwordx2 v[22:23], v[4:5], off offset:464
	global_load_dwordx2 v[28:29], v[4:5], off offset:1920
	global_load_dwordx2 v[30:31], v[4:5], off offset:3376
	v_add_co_u32_e32 v0, vcc, s2, v2
	v_add_u32_e32 v27, 0x1600, v190
	s_nop 0
	v_addc_co_u32_e32 v1, vcc, 0, v3, vcc
	global_load_dwordx2 v[32:33], v[0:1], off offset:736
	ds_read2_b64 v[0:3], v190 offset1:182
	v_add_u32_e32 v46, 0x2000, v190
	v_add_u32_e32 v47, 0xa00, v190
	;; [unrolled: 1-line block ×3, first 2 shown]
	ds_read2_b64 v[4:7], v27 offset0:24 offset1:206
	ds_read2_b64 v[8:11], v46 offset0:68 offset1:250
	;; [unrolled: 1-line block ×4, first 2 shown]
	s_waitcnt lgkmcnt(0)
	s_barrier
	s_waitcnt vmcnt(4)
	v_pk_mul_f32 v[34:35], v[20:21], v[6:7] op_sel:[0,1]
	s_waitcnt vmcnt(3)
	v_pk_mul_f32 v[36:37], v[22:23], v[8:9] op_sel:[0,1]
	;; [unrolled: 2-line block ×4, first 2 shown]
	v_pk_fma_f32 v[44:45], v[20:21], v[6:7], v[34:35] op_sel:[0,0,1] op_sel_hi:[1,1,0] neg_lo:[0,0,1] neg_hi:[0,0,1]
	v_pk_fma_f32 v[6:7], v[20:21], v[6:7], v[34:35] op_sel:[0,0,1] op_sel_hi:[1,0,0]
	v_pk_fma_f32 v[20:21], v[22:23], v[8:9], v[36:37] op_sel:[0,0,1] op_sel_hi:[1,1,0] neg_lo:[0,0,1] neg_hi:[0,0,1]
	v_pk_fma_f32 v[8:9], v[22:23], v[8:9], v[36:37] op_sel:[0,0,1] op_sel_hi:[1,0,0]
	v_pk_fma_f32 v[22:23], v[28:29], v[10:11], v[38:39] op_sel:[0,0,1] op_sel_hi:[1,1,0] neg_lo:[0,0,1] neg_hi:[0,0,1]
	s_waitcnt vmcnt(0)
	v_pk_mul_f32 v[42:43], v[32:33], v[18:19] op_sel:[0,1]
	v_pk_fma_f32 v[10:11], v[28:29], v[10:11], v[38:39] op_sel:[0,0,1] op_sel_hi:[1,0,0]
	v_pk_fma_f32 v[28:29], v[30:31], v[16:17], v[40:41] op_sel:[0,0,1] op_sel_hi:[1,1,0] neg_lo:[0,0,1] neg_hi:[0,0,1]
	v_pk_fma_f32 v[16:17], v[30:31], v[16:17], v[40:41] op_sel:[0,0,1] op_sel_hi:[1,0,0]
	v_pk_fma_f32 v[30:31], v[32:33], v[18:19], v[42:43] op_sel:[0,0,1] op_sel_hi:[1,1,0] neg_lo:[0,0,1] neg_hi:[0,0,1]
	v_pk_fma_f32 v[18:19], v[32:33], v[18:19], v[42:43] op_sel:[0,0,1] op_sel_hi:[1,0,0]
	v_mov_b32_e32 v45, v7
	v_mov_b32_e32 v21, v9
	v_mov_b32_e32 v23, v11
	v_mov_b32_e32 v29, v17
	v_mov_b32_e32 v31, v19
	v_pk_add_f32 v[6:7], v[0:1], v[44:45] neg_lo:[0,1] neg_hi:[0,1]
	v_pk_add_f32 v[8:9], v[2:3], v[20:21] neg_lo:[0,1] neg_hi:[0,1]
	;; [unrolled: 1-line block ×5, first 2 shown]
	v_pk_fma_f32 v[0:1], v[0:1], 2.0, v[6:7] op_sel_hi:[1,0,1] neg_lo:[0,0,1] neg_hi:[0,0,1]
	v_pk_fma_f32 v[2:3], v[2:3], 2.0, v[8:9] op_sel_hi:[1,0,1] neg_lo:[0,0,1] neg_hi:[0,0,1]
	;; [unrolled: 1-line block ×5, first 2 shown]
	ds_write2_b64 v46, v[8:9], v[10:11] offset0:68 offset1:250
	ds_write2_b64 v48, v[16:17], v[18:19] offset0:48 offset1:230
	ds_write2_b64 v190, v[0:1], v[2:3] offset1:182
	ds_write2_b64 v47, v[12:13], v[14:15] offset0:44 offset1:226
	ds_write2_b64 v27, v[4:5], v[6:7] offset0:24 offset1:206
	s_waitcnt lgkmcnt(0)
	s_barrier
	s_and_saveexec_b64 s[2:3], s[0:1]
	s_cbranch_execz .LBB0_29
; %bb.28:
	v_lshl_add_u32 v8, v26, 3, 0
	ds_read2_b64 v[0:3], v8 offset1:182
	v_mov_b32_e32 v27, 0
	v_add_u32_e32 v4, 0xb6, v26
	v_lshl_add_u64 v[6:7], v[26:27], 3, v[24:25]
	v_mov_b32_e32 v5, v27
	s_waitcnt lgkmcnt(0)
	global_store_dwordx2 v[6:7], v[0:1], off
	v_lshl_add_u64 v[0:1], v[4:5], 3, v[24:25]
	v_add_u32_e32 v4, 0xa00, v8
	ds_read2_b64 v[4:7], v4 offset0:44 offset1:226
	global_store_dwordx2 v[0:1], v[2:3], off
	v_add_u32_e32 v0, 0x16c, v26
	v_mov_b32_e32 v1, v27
	v_lshl_add_u64 v[0:1], v[0:1], 3, v[24:25]
	s_waitcnt lgkmcnt(0)
	global_store_dwordx2 v[0:1], v[4:5], off
	v_add_u32_e32 v0, 0x222, v26
	v_mov_b32_e32 v1, v27
	v_lshl_add_u64 v[4:5], v[0:1], 3, v[24:25]
	v_add_u32_e32 v0, 0x1600, v8
	ds_read2_b64 v[0:3], v0 offset0:24 offset1:206
	global_store_dwordx2 v[4:5], v[6:7], off
	v_add_u32_e32 v4, 0x2d8, v26
	v_mov_b32_e32 v5, v27
	v_lshl_add_u64 v[4:5], v[4:5], 3, v[24:25]
	s_waitcnt lgkmcnt(0)
	global_store_dwordx2 v[4:5], v[0:1], off
	v_add_u32_e32 v4, 0x2000, v8
	ds_read2_b64 v[4:7], v4 offset0:68 offset1:250
	v_add_u32_e32 v0, 0x38e, v26
	v_mov_b32_e32 v1, v27
	v_lshl_add_u64 v[0:1], v[0:1], 3, v[24:25]
	global_store_dwordx2 v[0:1], v[2:3], off
	v_add_u32_e32 v0, 0x444, v26
	v_mov_b32_e32 v1, v27
	v_lshl_add_u64 v[0:1], v[0:1], 3, v[24:25]
	s_waitcnt lgkmcnt(0)
	global_store_dwordx2 v[0:1], v[4:5], off
	v_add_u32_e32 v0, 0x4fa, v26
	v_mov_b32_e32 v1, v27
	v_lshl_add_u64 v[4:5], v[0:1], 3, v[24:25]
	v_add_u32_e32 v0, 0x2c00, v8
	ds_read2_b64 v[0:3], v0 offset0:48 offset1:230
	global_store_dwordx2 v[4:5], v[6:7], off
	v_add_u32_e32 v4, 0x5b0, v26
	v_mov_b32_e32 v5, v27
	v_lshl_add_u64 v[4:5], v[4:5], 3, v[24:25]
	v_add_u32_e32 v26, 0x666, v26
	s_waitcnt lgkmcnt(0)
	global_store_dwordx2 v[4:5], v[0:1], off
	v_lshl_add_u64 v[0:1], v[26:27], 3, v[24:25]
	global_store_dwordx2 v[0:1], v[2:3], off
.LBB0_29:
	s_endpgm
	.section	.rodata,"a",@progbits
	.p2align	6, 0x0
	.amdhsa_kernel fft_rtc_fwd_len1820_factors_10_13_7_2_wgs_182_tpt_182_halfLds_sp_ip_CI_unitstride_sbrr_C2R_dirReg
		.amdhsa_group_segment_fixed_size 0
		.amdhsa_private_segment_fixed_size 0
		.amdhsa_kernarg_size 88
		.amdhsa_user_sgpr_count 2
		.amdhsa_user_sgpr_dispatch_ptr 0
		.amdhsa_user_sgpr_queue_ptr 0
		.amdhsa_user_sgpr_kernarg_segment_ptr 1
		.amdhsa_user_sgpr_dispatch_id 0
		.amdhsa_user_sgpr_kernarg_preload_length 0
		.amdhsa_user_sgpr_kernarg_preload_offset 0
		.amdhsa_user_sgpr_private_segment_size 0
		.amdhsa_uses_dynamic_stack 0
		.amdhsa_enable_private_segment 0
		.amdhsa_system_sgpr_workgroup_id_x 1
		.amdhsa_system_sgpr_workgroup_id_y 0
		.amdhsa_system_sgpr_workgroup_id_z 0
		.amdhsa_system_sgpr_workgroup_info 0
		.amdhsa_system_vgpr_workitem_id 0
		.amdhsa_next_free_vgpr 198
		.amdhsa_next_free_sgpr 32
		.amdhsa_accum_offset 200
		.amdhsa_reserve_vcc 1
		.amdhsa_float_round_mode_32 0
		.amdhsa_float_round_mode_16_64 0
		.amdhsa_float_denorm_mode_32 3
		.amdhsa_float_denorm_mode_16_64 3
		.amdhsa_dx10_clamp 1
		.amdhsa_ieee_mode 1
		.amdhsa_fp16_overflow 0
		.amdhsa_tg_split 0
		.amdhsa_exception_fp_ieee_invalid_op 0
		.amdhsa_exception_fp_denorm_src 0
		.amdhsa_exception_fp_ieee_div_zero 0
		.amdhsa_exception_fp_ieee_overflow 0
		.amdhsa_exception_fp_ieee_underflow 0
		.amdhsa_exception_fp_ieee_inexact 0
		.amdhsa_exception_int_div_zero 0
	.end_amdhsa_kernel
	.text
.Lfunc_end0:
	.size	fft_rtc_fwd_len1820_factors_10_13_7_2_wgs_182_tpt_182_halfLds_sp_ip_CI_unitstride_sbrr_C2R_dirReg, .Lfunc_end0-fft_rtc_fwd_len1820_factors_10_13_7_2_wgs_182_tpt_182_halfLds_sp_ip_CI_unitstride_sbrr_C2R_dirReg
                                        ; -- End function
	.section	.AMDGPU.csdata,"",@progbits
; Kernel info:
; codeLenInByte = 9328
; NumSgprs: 38
; NumVgprs: 198
; NumAgprs: 0
; TotalNumVgprs: 198
; ScratchSize: 0
; MemoryBound: 0
; FloatMode: 240
; IeeeMode: 1
; LDSByteSize: 0 bytes/workgroup (compile time only)
; SGPRBlocks: 4
; VGPRBlocks: 24
; NumSGPRsForWavesPerEU: 38
; NumVGPRsForWavesPerEU: 198
; AccumOffset: 200
; Occupancy: 2
; WaveLimiterHint : 1
; COMPUTE_PGM_RSRC2:SCRATCH_EN: 0
; COMPUTE_PGM_RSRC2:USER_SGPR: 2
; COMPUTE_PGM_RSRC2:TRAP_HANDLER: 0
; COMPUTE_PGM_RSRC2:TGID_X_EN: 1
; COMPUTE_PGM_RSRC2:TGID_Y_EN: 0
; COMPUTE_PGM_RSRC2:TGID_Z_EN: 0
; COMPUTE_PGM_RSRC2:TIDIG_COMP_CNT: 0
; COMPUTE_PGM_RSRC3_GFX90A:ACCUM_OFFSET: 49
; COMPUTE_PGM_RSRC3_GFX90A:TG_SPLIT: 0
	.text
	.p2alignl 6, 3212836864
	.fill 256, 4, 3212836864
	.type	__hip_cuid_49ed296f82394d,@object ; @__hip_cuid_49ed296f82394d
	.section	.bss,"aw",@nobits
	.globl	__hip_cuid_49ed296f82394d
__hip_cuid_49ed296f82394d:
	.byte	0                               ; 0x0
	.size	__hip_cuid_49ed296f82394d, 1

	.ident	"AMD clang version 19.0.0git (https://github.com/RadeonOpenCompute/llvm-project roc-6.4.0 25133 c7fe45cf4b819c5991fe208aaa96edf142730f1d)"
	.section	".note.GNU-stack","",@progbits
	.addrsig
	.addrsig_sym __hip_cuid_49ed296f82394d
	.amdgpu_metadata
---
amdhsa.kernels:
  - .agpr_count:     0
    .args:
      - .actual_access:  read_only
        .address_space:  global
        .offset:         0
        .size:           8
        .value_kind:     global_buffer
      - .offset:         8
        .size:           8
        .value_kind:     by_value
      - .actual_access:  read_only
        .address_space:  global
        .offset:         16
        .size:           8
        .value_kind:     global_buffer
      - .actual_access:  read_only
        .address_space:  global
        .offset:         24
        .size:           8
        .value_kind:     global_buffer
      - .offset:         32
        .size:           8
        .value_kind:     by_value
      - .actual_access:  read_only
        .address_space:  global
        .offset:         40
        .size:           8
        .value_kind:     global_buffer
      - .actual_access:  read_only
        .address_space:  global
        .offset:         48
        .size:           8
        .value_kind:     global_buffer
      - .offset:         56
        .size:           4
        .value_kind:     by_value
      - .actual_access:  read_only
        .address_space:  global
        .offset:         64
        .size:           8
        .value_kind:     global_buffer
      - .actual_access:  read_only
        .address_space:  global
        .offset:         72
        .size:           8
        .value_kind:     global_buffer
      - .address_space:  global
        .offset:         80
        .size:           8
        .value_kind:     global_buffer
    .group_segment_fixed_size: 0
    .kernarg_segment_align: 8
    .kernarg_segment_size: 88
    .language:       OpenCL C
    .language_version:
      - 2
      - 0
    .max_flat_workgroup_size: 182
    .name:           fft_rtc_fwd_len1820_factors_10_13_7_2_wgs_182_tpt_182_halfLds_sp_ip_CI_unitstride_sbrr_C2R_dirReg
    .private_segment_fixed_size: 0
    .sgpr_count:     38
    .sgpr_spill_count: 0
    .symbol:         fft_rtc_fwd_len1820_factors_10_13_7_2_wgs_182_tpt_182_halfLds_sp_ip_CI_unitstride_sbrr_C2R_dirReg.kd
    .uniform_work_group_size: 1
    .uses_dynamic_stack: false
    .vgpr_count:     198
    .vgpr_spill_count: 0
    .wavefront_size: 64
amdhsa.target:   amdgcn-amd-amdhsa--gfx950
amdhsa.version:
  - 1
  - 2
...

	.end_amdgpu_metadata
